;; amdgpu-corpus repo=ROCm/rocFFT kind=compiled arch=gfx950 opt=O3
	.text
	.amdgcn_target "amdgcn-amd-amdhsa--gfx950"
	.amdhsa_code_object_version 6
	.protected	fft_rtc_fwd_len663_factors_17_13_3_wgs_51_tpt_51_dp_op_CI_CI_unitstride_sbrr_dirReg ; -- Begin function fft_rtc_fwd_len663_factors_17_13_3_wgs_51_tpt_51_dp_op_CI_CI_unitstride_sbrr_dirReg
	.globl	fft_rtc_fwd_len663_factors_17_13_3_wgs_51_tpt_51_dp_op_CI_CI_unitstride_sbrr_dirReg
	.p2align	8
	.type	fft_rtc_fwd_len663_factors_17_13_3_wgs_51_tpt_51_dp_op_CI_CI_unitstride_sbrr_dirReg,@function
fft_rtc_fwd_len663_factors_17_13_3_wgs_51_tpt_51_dp_op_CI_CI_unitstride_sbrr_dirReg: ; @fft_rtc_fwd_len663_factors_17_13_3_wgs_51_tpt_51_dp_op_CI_CI_unitstride_sbrr_dirReg
; %bb.0:
	s_load_dwordx4 s[8:11], s[0:1], 0x58
	s_load_dwordx4 s[4:7], s[0:1], 0x0
	;; [unrolled: 1-line block ×3, first 2 shown]
	v_mul_u32_u24_e32 v1, 0x506, v0
	v_add_u32_sdwa v6, s2, v1 dst_sel:DWORD dst_unused:UNUSED_PAD src0_sel:DWORD src1_sel:WORD_1
	v_mov_b32_e32 v4, 0
	s_waitcnt lgkmcnt(0)
	v_cmp_lt_u64_e64 s[2:3], s[6:7], 2
	v_mov_b32_e32 v7, v4
	s_and_b64 vcc, exec, s[2:3]
	v_mov_b64_e32 v[2:3], 0
	s_cbranch_vccnz .LBB0_8
; %bb.1:
	s_load_dwordx2 s[2:3], s[0:1], 0x10
	s_add_u32 s16, s14, 8
	s_addc_u32 s17, s15, 0
	s_add_u32 s18, s12, 8
	s_addc_u32 s19, s13, 0
	s_waitcnt lgkmcnt(0)
	s_add_u32 s20, s2, 8
	v_mov_b64_e32 v[2:3], 0
	s_addc_u32 s21, s3, 0
	s_mov_b64 s[22:23], 1
	v_mov_b64_e32 v[120:121], v[2:3]
.LBB0_2:                                ; =>This Inner Loop Header: Depth=1
	s_load_dwordx2 s[24:25], s[20:21], 0x0
                                        ; implicit-def: $vgpr124_vgpr125
	s_waitcnt lgkmcnt(0)
	v_or_b32_e32 v5, s25, v7
	v_cmp_ne_u64_e32 vcc, 0, v[4:5]
	s_and_saveexec_b64 s[2:3], vcc
	s_xor_b64 s[26:27], exec, s[2:3]
	s_cbranch_execz .LBB0_4
; %bb.3:                                ;   in Loop: Header=BB0_2 Depth=1
	v_cvt_f32_u32_e32 v1, s24
	v_cvt_f32_u32_e32 v5, s25
	s_sub_u32 s2, 0, s24
	s_subb_u32 s3, 0, s25
	v_fmac_f32_e32 v1, 0x4f800000, v5
	v_rcp_f32_e32 v1, v1
	s_nop 0
	v_mul_f32_e32 v1, 0x5f7ffffc, v1
	v_mul_f32_e32 v5, 0x2f800000, v1
	v_trunc_f32_e32 v5, v5
	v_fmac_f32_e32 v1, 0xcf800000, v5
	v_cvt_u32_f32_e32 v5, v5
	v_cvt_u32_f32_e32 v1, v1
	v_mul_lo_u32 v8, s2, v5
	v_mul_hi_u32 v10, s2, v1
	v_mul_lo_u32 v9, s3, v1
	v_add_u32_e32 v10, v10, v8
	v_mul_lo_u32 v12, s2, v1
	v_add_u32_e32 v13, v10, v9
	v_mul_hi_u32 v8, v1, v12
	v_mul_hi_u32 v11, v1, v13
	v_mul_lo_u32 v10, v1, v13
	v_mov_b32_e32 v9, v4
	v_lshl_add_u64 v[8:9], v[8:9], 0, v[10:11]
	v_mul_hi_u32 v11, v5, v12
	v_mul_lo_u32 v12, v5, v12
	v_add_co_u32_e32 v8, vcc, v8, v12
	v_mul_hi_u32 v10, v5, v13
	s_nop 0
	v_addc_co_u32_e32 v8, vcc, v9, v11, vcc
	v_mov_b32_e32 v9, v4
	s_nop 0
	v_addc_co_u32_e32 v11, vcc, 0, v10, vcc
	v_mul_lo_u32 v10, v5, v13
	v_lshl_add_u64 v[8:9], v[8:9], 0, v[10:11]
	v_add_co_u32_e32 v1, vcc, v1, v8
	v_mul_lo_u32 v10, s2, v1
	s_nop 0
	v_addc_co_u32_e32 v5, vcc, v5, v9, vcc
	v_mul_lo_u32 v8, s2, v5
	v_mul_hi_u32 v9, s2, v1
	v_add_u32_e32 v8, v9, v8
	v_mul_lo_u32 v9, s3, v1
	v_add_u32_e32 v12, v8, v9
	v_mul_hi_u32 v14, v5, v10
	v_mul_lo_u32 v15, v5, v10
	v_mul_hi_u32 v9, v1, v12
	v_mul_lo_u32 v8, v1, v12
	v_mul_hi_u32 v10, v1, v10
	v_mov_b32_e32 v11, v4
	v_lshl_add_u64 v[8:9], v[10:11], 0, v[8:9]
	v_add_co_u32_e32 v8, vcc, v8, v15
	v_mul_hi_u32 v13, v5, v12
	s_nop 0
	v_addc_co_u32_e32 v8, vcc, v9, v14, vcc
	v_mul_lo_u32 v10, v5, v12
	s_nop 0
	v_addc_co_u32_e32 v11, vcc, 0, v13, vcc
	v_mov_b32_e32 v9, v4
	v_lshl_add_u64 v[8:9], v[8:9], 0, v[10:11]
	v_add_co_u32_e32 v1, vcc, v1, v8
	v_mul_hi_u32 v10, v6, v1
	s_nop 0
	v_addc_co_u32_e32 v5, vcc, v5, v9, vcc
	v_mad_u64_u32 v[8:9], s[2:3], v6, v5, 0
	v_mov_b32_e32 v11, v4
	v_lshl_add_u64 v[8:9], v[10:11], 0, v[8:9]
	v_mad_u64_u32 v[12:13], s[2:3], v7, v1, 0
	v_add_co_u32_e32 v1, vcc, v8, v12
	v_mad_u64_u32 v[10:11], s[2:3], v7, v5, 0
	s_nop 0
	v_addc_co_u32_e32 v8, vcc, v9, v13, vcc
	v_mov_b32_e32 v9, v4
	s_nop 0
	v_addc_co_u32_e32 v11, vcc, 0, v11, vcc
	v_lshl_add_u64 v[8:9], v[8:9], 0, v[10:11]
	v_mul_lo_u32 v1, s25, v8
	v_mul_lo_u32 v5, s24, v9
	v_mad_u64_u32 v[10:11], s[2:3], s24, v8, 0
	v_add3_u32 v1, v11, v5, v1
	v_sub_u32_e32 v5, v7, v1
	v_mov_b32_e32 v11, s25
	v_sub_co_u32_e32 v14, vcc, v6, v10
	v_lshl_add_u64 v[12:13], v[8:9], 0, 1
	s_nop 0
	v_subb_co_u32_e64 v5, s[2:3], v5, v11, vcc
	v_subrev_co_u32_e64 v10, s[2:3], s24, v14
	v_subb_co_u32_e32 v1, vcc, v7, v1, vcc
	s_nop 0
	v_subbrev_co_u32_e64 v5, s[2:3], 0, v5, s[2:3]
	v_cmp_le_u32_e64 s[2:3], s25, v5
	v_cmp_le_u32_e32 vcc, s25, v1
	s_nop 0
	v_cndmask_b32_e64 v11, 0, -1, s[2:3]
	v_cmp_le_u32_e64 s[2:3], s24, v10
	s_nop 1
	v_cndmask_b32_e64 v10, 0, -1, s[2:3]
	v_cmp_eq_u32_e64 s[2:3], s25, v5
	s_nop 1
	v_cndmask_b32_e64 v5, v11, v10, s[2:3]
	v_lshl_add_u64 v[10:11], v[8:9], 0, 2
	v_cmp_ne_u32_e64 s[2:3], 0, v5
	s_nop 1
	v_cndmask_b32_e64 v5, v13, v11, s[2:3]
	v_cndmask_b32_e64 v11, 0, -1, vcc
	v_cmp_le_u32_e32 vcc, s24, v14
	s_nop 1
	v_cndmask_b32_e64 v13, 0, -1, vcc
	v_cmp_eq_u32_e32 vcc, s25, v1
	s_nop 1
	v_cndmask_b32_e32 v1, v11, v13, vcc
	v_cmp_ne_u32_e32 vcc, 0, v1
	v_cndmask_b32_e64 v1, v12, v10, s[2:3]
	s_nop 0
	v_cndmask_b32_e32 v125, v9, v5, vcc
	v_cndmask_b32_e32 v124, v8, v1, vcc
.LBB0_4:                                ;   in Loop: Header=BB0_2 Depth=1
	s_andn2_saveexec_b64 s[2:3], s[26:27]
	s_cbranch_execz .LBB0_6
; %bb.5:                                ;   in Loop: Header=BB0_2 Depth=1
	v_cvt_f32_u32_e32 v1, s24
	s_sub_i32 s26, 0, s24
	v_mov_b32_e32 v125, v4
	v_rcp_iflag_f32_e32 v1, v1
	s_nop 0
	v_mul_f32_e32 v1, 0x4f7ffffe, v1
	v_cvt_u32_f32_e32 v1, v1
	v_mul_lo_u32 v5, s26, v1
	v_mul_hi_u32 v5, v1, v5
	v_add_u32_e32 v1, v1, v5
	v_mul_hi_u32 v1, v6, v1
	v_mul_lo_u32 v5, v1, s24
	v_sub_u32_e32 v5, v6, v5
	v_add_u32_e32 v8, 1, v1
	v_subrev_u32_e32 v9, s24, v5
	v_cmp_le_u32_e32 vcc, s24, v5
	s_nop 1
	v_cndmask_b32_e32 v5, v5, v9, vcc
	v_cndmask_b32_e32 v1, v1, v8, vcc
	v_add_u32_e32 v8, 1, v1
	v_cmp_le_u32_e32 vcc, s24, v5
	s_nop 1
	v_cndmask_b32_e32 v124, v1, v8, vcc
.LBB0_6:                                ;   in Loop: Header=BB0_2 Depth=1
	s_or_b64 exec, exec, s[2:3]
	v_mad_u64_u32 v[8:9], s[2:3], v124, s24, 0
	s_load_dwordx2 s[2:3], s[18:19], 0x0
	v_mul_lo_u32 v1, v125, s24
	v_mul_lo_u32 v5, v124, s25
	s_load_dwordx2 s[24:25], s[16:17], 0x0
	s_add_u32 s22, s22, 1
	v_add3_u32 v1, v9, v5, v1
	v_sub_co_u32_e32 v5, vcc, v6, v8
	s_addc_u32 s23, s23, 0
	s_nop 0
	v_subb_co_u32_e32 v1, vcc, v7, v1, vcc
	s_add_u32 s16, s16, 8
	s_waitcnt lgkmcnt(0)
	v_mul_lo_u32 v6, s2, v1
	v_mul_lo_u32 v7, s3, v5
	v_mad_u64_u32 v[2:3], s[2:3], s2, v5, v[2:3]
	s_addc_u32 s17, s17, 0
	v_add3_u32 v3, v7, v3, v6
	v_mul_lo_u32 v1, s24, v1
	v_mul_lo_u32 v6, s25, v5
	v_mad_u64_u32 v[120:121], s[2:3], s24, v5, v[120:121]
	s_add_u32 s18, s18, 8
	v_add3_u32 v121, v6, v121, v1
	s_addc_u32 s19, s19, 0
	v_mov_b64_e32 v[6:7], s[6:7]
	s_add_u32 s20, s20, 8
	v_cmp_ge_u64_e32 vcc, s[22:23], v[6:7]
	s_addc_u32 s21, s21, 0
	s_cbranch_vccnz .LBB0_9
; %bb.7:                                ;   in Loop: Header=BB0_2 Depth=1
	v_mov_b64_e32 v[6:7], v[124:125]
	s_branch .LBB0_2
.LBB0_8:
	v_mov_b64_e32 v[120:121], v[2:3]
	v_mov_b64_e32 v[124:125], v[6:7]
.LBB0_9:
	s_load_dwordx2 s[0:1], s[0:1], 0x28
	s_mov_b32 s16, 0x5050506
	v_mul_hi_u32 v1, v0, s16
	v_mul_u32_u24_e32 v1, 51, v1
	s_lshl_b64 s[2:3], s[6:7], 3
	v_sub_u32_e32 v122, v0, v1
	s_add_u32 s6, s14, s2
	s_waitcnt lgkmcnt(0)
	v_cmp_gt_u64_e32 vcc, s[0:1], v[124:125]
	v_cmp_gt_u32_e64 s[0:1], 39, v122
	s_addc_u32 s7, s15, s3
	s_and_b64 s[16:17], vcc, s[0:1]
                                        ; implicit-def: $vgpr74_vgpr75
                                        ; implicit-def: $vgpr70_vgpr71
                                        ; implicit-def: $vgpr62_vgpr63
                                        ; implicit-def: $vgpr58_vgpr59
                                        ; implicit-def: $vgpr66_vgpr67
                                        ; implicit-def: $vgpr54_vgpr55
                                        ; implicit-def: $vgpr50_vgpr51
                                        ; implicit-def: $vgpr46_vgpr47
                                        ; implicit-def: $vgpr42_vgpr43
                                        ; implicit-def: $vgpr38_vgpr39
                                        ; implicit-def: $vgpr34_vgpr35
                                        ; implicit-def: $vgpr30_vgpr31
                                        ; implicit-def: $vgpr26_vgpr27
                                        ; implicit-def: $vgpr22_vgpr23
                                        ; implicit-def: $vgpr18_vgpr19
                                        ; implicit-def: $vgpr14_vgpr15
                                        ; implicit-def: $vgpr10_vgpr11
	s_and_saveexec_b64 s[14:15], s[16:17]
	s_cbranch_execz .LBB0_11
; %bb.10:
	s_add_u32 s2, s12, s2
	s_addc_u32 s3, s13, s3
	s_load_dwordx2 s[2:3], s[2:3], 0x0
	v_mov_b32_e32 v123, 0
	s_waitcnt lgkmcnt(0)
	v_mul_lo_u32 v4, s3, v124
	v_mul_lo_u32 v5, s2, v125
	v_mad_u64_u32 v[0:1], s[2:3], s2, v124, 0
	v_add3_u32 v1, v1, v5, v4
	v_lshl_add_u64 v[0:1], v[0:1], 4, s[8:9]
	v_lshl_add_u64 v[0:1], v[2:3], 4, v[0:1]
	;; [unrolled: 1-line block ×3, first 2 shown]
	s_movk_i32 s2, 0x1000
	v_add_co_u32_e64 v2, s[2:3], s2, v0
	global_load_dwordx4 v[8:11], v[0:1], off
	global_load_dwordx4 v[12:15], v[0:1], off offset:624
	global_load_dwordx4 v[16:19], v[0:1], off offset:1248
	;; [unrolled: 1-line block ×5, first 2 shown]
	v_addc_co_u32_e64 v3, s[2:3], 0, v1, s[2:3]
	s_movk_i32 s2, 0x2000
	global_load_dwordx4 v[32:35], v[0:1], off offset:3744
	global_load_dwordx4 v[36:39], v[2:3], off offset:272
	global_load_dwordx4 v[40:43], v[2:3], off offset:896
	global_load_dwordx4 v[44:47], v[2:3], off offset:1520
	global_load_dwordx4 v[48:51], v[2:3], off offset:2144
	global_load_dwordx4 v[52:55], v[2:3], off offset:2768
	v_add_co_u32_e64 v0, s[2:3], s2, v0
	s_nop 1
	v_addc_co_u32_e64 v1, s[2:3], 0, v1, s[2:3]
	global_load_dwordx4 v[64:67], v[2:3], off offset:3392
	global_load_dwordx4 v[56:59], v[2:3], off offset:4016
	;; [unrolled: 1-line block ×5, first 2 shown]
.LBB0_11:
	s_or_b64 exec, exec, s[14:15]
	s_mov_b32 s2, 0x2b2883cd
	s_waitcnt vmcnt(0)
	v_add_f64 v[126:127], v[72:73], v[12:13]
	s_mov_b32 s3, 0x3fdc86fa
	s_mov_b32 s12, 0x7c9e640b
	;; [unrolled: 1-line block ×3, first 2 shown]
	v_add_f64 v[128:129], v[14:15], -v[74:75]
	v_mul_f64 v[78:79], v[126:127], s[2:3]
	s_mov_b32 s13, 0xbfeca52d
	s_mov_b32 s9, 0xbfe348c8
	;; [unrolled: 1-line block ×3, first 2 shown]
	v_add_f64 v[130:131], v[68:69], v[16:17]
	v_fma_f64 v[0:1], s[12:13], v[128:129], v[78:79]
	s_mov_b32 s17, 0xbfe9895b
	v_add_f64 v[138:139], v[18:19], -v[70:71]
	v_mul_f64 v[80:81], v[130:131], s[8:9]
	v_add_f64 v[144:145], v[12:13], -v[72:73]
	v_add_f64 v[0:1], v[8:9], v[0:1]
	v_fma_f64 v[2:3], s[16:17], v[138:139], v[80:81]
	v_add_f64 v[132:133], v[74:75], v[14:15]
	v_mul_f64 v[82:83], v[144:145], s[12:13]
	v_add_f64 v[146:147], v[16:17], -v[68:69]
	s_mov_b32 s14, 0x7faef3
	v_add_f64 v[0:1], v[2:3], v[0:1]
	v_fma_f64 v[2:3], v[132:133], s[2:3], -v[82:83]
	v_add_f64 v[134:135], v[70:71], v[18:19]
	v_mul_f64 v[84:85], v[146:147], s[16:17]
	s_mov_b32 s15, 0xbfef7484
	s_mov_b32 s20, 0xacd6c6b4
	v_add_f64 v[136:137], v[60:61], v[20:21]
	v_add_f64 v[2:3], v[10:11], v[2:3]
	v_fma_f64 v[4:5], v[134:135], s[8:9], -v[84:85]
	s_mov_b32 s21, 0xbfc7851a
	s_mov_b32 s45, 0x3fc7851a
	;; [unrolled: 1-line block ×3, first 2 shown]
	v_add_f64 v[148:149], v[22:23], -v[62:63]
	v_mul_f64 v[86:87], v[136:137], s[14:15]
	v_add_f64 v[156:157], v[20:21], -v[60:61]
	s_mov_b32 s18, 0xc61f0d01
	v_add_f64 v[2:3], v[4:5], v[2:3]
	v_fma_f64 v[4:5], s[44:45], v[148:149], v[86:87]
	v_add_f64 v[140:141], v[62:63], v[22:23]
	v_mul_f64 v[190:191], v[156:157], s[44:45]
	s_mov_b32 s19, 0xbfd183b1
	s_mov_b32 s38, 0x923c349f
	v_add_f64 v[142:143], v[56:57], v[24:25]
	v_add_f64 v[0:1], v[4:5], v[0:1]
	v_fma_f64 v[4:5], v[140:141], s[14:15], -v[190:191]
	s_mov_b32 s39, 0x3feec746
	v_add_f64 v[154:155], v[26:27], -v[58:59]
	v_mul_f64 v[192:193], v[142:143], s[18:19]
	v_add_f64 v[162:163], v[24:25], -v[56:57]
	s_mov_b32 s22, 0x75d4884
	v_add_f64 v[2:3], v[4:5], v[2:3]
	v_fma_f64 v[4:5], s[38:39], v[154:155], v[192:193]
	v_add_f64 v[150:151], v[58:59], v[26:27]
	v_mul_f64 v[196:197], v[162:163], s[38:39]
	s_mov_b32 s23, 0x3fe7a5f6
	s_mov_b32 s46, 0x2a9d6da3
	v_add_f64 v[152:153], v[64:65], v[28:29]
	v_add_f64 v[0:1], v[4:5], v[0:1]
	v_fma_f64 v[4:5], v[150:151], s[18:19], -v[196:197]
	s_mov_b32 s47, 0x3fe58eea
	;; [unrolled: 14-line block ×3, first 2 shown]
	s_mov_b32 s31, 0xbfd71e95
	s_mov_b32 s30, s42
	v_add_f64 v[170:171], v[34:35], -v[54:55]
	v_mul_f64 v[202:203], v[158:159], s[26:27]
	v_add_f64 v[178:179], v[32:33], -v[52:53]
	s_mov_b32 s28, 0x3259b75e
	v_add_f64 v[2:3], v[4:5], v[2:3]
	v_fma_f64 v[4:5], s[30:31], v[170:171], v[202:203]
	v_add_f64 v[166:167], v[54:55], v[34:35]
	v_mul_f64 v[204:205], v[178:179], s[30:31]
	s_mov_b32 s29, 0x3fb79ee6
	s_mov_b32 s36, 0xeb564b22
	v_add_f64 v[168:169], v[48:49], v[36:37]
	v_add_f64 v[0:1], v[4:5], v[0:1]
	v_fma_f64 v[4:5], v[166:167], s[26:27], -v[204:205]
	s_mov_b32 s37, 0xbfefdd0d
	v_add_f64 v[180:181], v[38:39], -v[50:51]
	v_mul_f64 v[206:207], v[168:169], s[28:29]
	v_add_f64 v[188:189], v[36:37], -v[48:49]
	s_mov_b32 s34, 0x910ea3b9
	v_add_f64 v[2:3], v[4:5], v[2:3]
	v_fma_f64 v[4:5], s[36:37], v[180:181], v[206:207]
	v_add_f64 v[176:177], v[50:51], v[38:39]
	v_mul_f64 v[208:209], v[188:189], s[36:37]
	s_mov_b32 s35, 0xbfeb34fa
	s_mov_b32 s40, 0x4363dd80
	v_add_f64 v[174:175], v[44:45], v[40:41]
	v_add_f64 v[0:1], v[4:5], v[0:1]
	v_fma_f64 v[4:5], v[176:177], s[28:29], -v[208:209]
	s_mov_b32 s41, 0xbfe0d888
	v_add_f64 v[186:187], v[42:43], -v[46:47]
	v_mul_f64 v[210:211], v[174:175], s[34:35]
	v_add_f64 v[194:195], v[40:41], -v[44:45]
	v_add_f64 v[2:3], v[4:5], v[2:3]
	v_fma_f64 v[4:5], s[40:41], v[186:187], v[210:211]
	v_add_f64 v[182:183], v[46:47], v[42:43]
	v_mul_f64 v[212:213], v[194:195], s[40:41]
	v_add_f64 v[0:1], v[4:5], v[0:1]
	v_fma_f64 v[4:5], v[182:183], s[34:35], -v[212:213]
	v_mul_f64 v[108:109], v[126:127], s[28:29]
	v_add_f64 v[2:3], v[4:5], v[2:3]
	v_fma_f64 v[4:5], s[36:37], v[128:129], v[108:109]
	v_mul_f64 v[110:111], v[130:131], s[14:15]
	v_add_f64 v[4:5], v[8:9], v[4:5]
	v_fma_f64 v[6:7], s[20:21], v[138:139], v[110:111]
	v_mul_f64 v[222:223], v[144:145], s[36:37]
	v_add_f64 v[4:5], v[6:7], v[4:5]
	v_fma_f64 v[6:7], v[132:133], s[28:29], -v[222:223]
	v_mul_f64 v[226:227], v[146:147], s[20:21]
	v_add_f64 v[6:7], v[10:11], v[6:7]
	v_fma_f64 v[76:77], v[134:135], s[14:15], -v[226:227]
	v_mul_f64 v[214:215], v[136:137], s[18:19]
	v_add_f64 v[6:7], v[76:77], v[6:7]
	v_fma_f64 v[76:77], s[38:39], v[148:149], v[214:215]
	v_mul_f64 v[230:231], v[156:157], s[38:39]
	v_add_f64 v[4:5], v[76:77], v[4:5]
	v_fma_f64 v[76:77], v[140:141], s[18:19], -v[230:231]
	v_mul_f64 v[216:217], v[142:143], s[26:27]
	v_add_f64 v[6:7], v[76:77], v[6:7]
	v_fma_f64 v[76:77], s[42:43], v[154:155], v[216:217]
	;; [unrolled: 6-line block ×4, first 2 shown]
	v_mul_f64 v[236:237], v[178:179], s[40:41]
	v_add_f64 v[4:5], v[76:77], v[4:5]
	v_fma_f64 v[76:77], v[166:167], s[34:35], -v[236:237]
	s_mov_b32 s51, 0x3fe9895b
	s_mov_b32 s50, s16
	v_mul_f64 v[224:225], v[168:169], s[8:9]
	v_add_f64 v[6:7], v[76:77], v[6:7]
	v_fma_f64 v[76:77], s[50:51], v[180:181], v[224:225]
	v_mul_f64 v[238:239], v[188:189], s[50:51]
	v_add_f64 v[4:5], v[76:77], v[4:5]
	v_fma_f64 v[76:77], v[176:177], s[8:9], -v[238:239]
	v_mul_f64 v[228:229], v[174:175], s[22:23]
	v_add_f64 v[6:7], v[76:77], v[6:7]
	v_fma_f64 v[76:77], s[46:47], v[186:187], v[228:229]
	v_mul_f64 v[240:241], v[194:195], s[46:47]
	v_add_f64 v[4:5], v[76:77], v[4:5]
	v_fma_f64 v[76:77], v[182:183], s[22:23], -v[240:241]
	v_add_f64 v[6:7], v[76:77], v[6:7]
	s_and_saveexec_b64 s[24:25], s[0:1]
	s_cbranch_execz .LBB0_13
; %bb.12:
	v_mul_f64 v[104:105], v[144:145], s[20:21]
	v_mul_f64 v[100:101], v[146:147], s[42:43]
	v_fma_f64 v[106:107], v[132:133], s[14:15], -v[104:105]
	v_mul_f64 v[250:251], v[128:129], s[20:21]
	v_mul_f64 v[96:97], v[156:157], s[40:41]
	v_fma_f64 v[102:103], v[134:135], s[26:27], -v[100:101]
	v_add_f64 v[106:107], v[10:11], v[106:107]
	v_mul_f64 v[246:247], v[138:139], s[42:43]
	v_fma_f64 v[252:253], s[14:15], v[126:127], v[250:251]
	v_mul_f64 v[92:93], v[162:163], s[46:47]
	v_fma_f64 v[98:99], v[140:141], s[34:35], -v[96:97]
	v_add_f64 v[102:103], v[102:103], v[106:107]
	v_mul_f64 v[244:245], v[148:149], s[40:41]
	v_fma_f64 v[248:249], s[26:27], v[130:131], v[246:247]
	v_add_f64 v[252:253], v[8:9], v[252:253]
	s_mov_b32 s49, 0x3feca52d
	s_mov_b32 s48, s12
	v_accvgpr_write_b32 a16, v84
	v_mul_f64 v[88:89], v[172:173], s[16:17]
	v_fma_f64 v[94:95], v[150:151], s[22:23], -v[92:93]
	v_add_f64 v[98:99], v[98:99], v[102:103]
	v_mul_f64 v[242:243], v[154:155], s[46:47]
	v_add_f64 v[248:249], v[248:249], v[252:253]
	v_fma_f64 v[252:253], s[34:35], v[136:137], v[244:245]
	s_mov_b32 s1, 0xbfeec746
	s_mov_b32 s0, s38
	v_accvgpr_write_b32 a14, v82
	v_accvgpr_write_b32 a17, v85
	v_mul_f64 v[84:85], v[178:179], s[48:49]
	v_accvgpr_write_b32 a12, v86
	v_fma_f64 v[90:91], v[160:161], s[8:9], -v[88:89]
	v_add_f64 v[94:95], v[94:95], v[98:99]
	v_mul_f64 v[106:107], v[164:165], s[16:17]
	v_add_f64 v[248:249], v[252:253], v[248:249]
	v_fma_f64 v[252:253], s[22:23], v[142:143], v[242:243]
	s_mov_b32 s55, 0x3fefdd0d
	s_mov_b32 s54, s36
	v_accvgpr_write_b32 a8, v80
	v_accvgpr_write_b32 a15, v83
	v_mul_f64 v[82:83], v[188:189], s[0:1]
	v_accvgpr_write_b32 a10, v78
	v_accvgpr_write_b32 a13, v87
	v_fma_f64 v[86:87], v[166:167], s[2:3], -v[84:85]
	v_add_f64 v[90:91], v[90:91], v[94:95]
	v_mul_f64 v[98:99], v[170:171], s[48:49]
	v_add_f64 v[248:249], v[252:253], v[248:249]
	v_fma_f64 v[252:253], s[8:9], v[152:153], v[106:107]
	v_accvgpr_write_b32 a9, v81
	v_mul_f64 v[80:81], v[194:195], s[54:55]
	v_accvgpr_write_b32 a11, v79
	v_fma_f64 v[78:79], v[176:177], s[18:19], -v[82:83]
	v_add_f64 v[86:87], v[86:87], v[90:91]
	v_mul_f64 v[90:91], v[180:181], s[0:1]
	v_fma_f64 v[102:103], s[2:3], v[158:159], v[98:99]
	v_add_f64 v[248:249], v[252:253], v[248:249]
	v_fma_f64 v[76:77], v[182:183], s[28:29], -v[80:81]
	v_add_f64 v[78:79], v[78:79], v[86:87]
	v_mul_f64 v[86:87], v[186:187], s[54:55]
	v_fma_f64 v[94:95], s[18:19], v[168:169], v[90:91]
	v_add_f64 v[102:103], v[102:103], v[248:249]
	v_add_f64 v[78:79], v[76:77], v[78:79]
	v_fma_f64 v[76:77], s[28:29], v[174:175], v[86:87]
	v_add_f64 v[94:95], v[94:95], v[102:103]
	v_fmac_f64_e32 v[104:105], s[14:15], v[132:133]
	v_add_f64 v[76:77], v[76:77], v[94:95]
	v_fmac_f64_e32 v[100:101], s[26:27], v[134:135]
	;; [unrolled: 2-line block ×7, first 2 shown]
	v_add_f64 v[84:85], v[84:85], v[88:89]
	v_fma_f64 v[94:95], v[130:131], s[26:27], -v[246:247]
	v_fma_f64 v[96:97], v[126:127], s[14:15], -v[250:251]
	v_mul_f64 v[246:247], v[144:145], s[40:41]
	v_add_f64 v[82:83], v[82:83], v[84:85]
	v_fma_f64 v[84:85], v[168:169], s[18:19], -v[90:91]
	v_fma_f64 v[90:91], v[142:143], s[22:23], -v[242:243]
	v_add_f64 v[96:97], v[8:9], v[96:97]
	v_mul_f64 v[242:243], v[146:147], s[48:49]
	v_fma_f64 v[248:249], v[132:133], s[34:35], -v[246:247]
	v_fma_f64 v[92:93], v[136:137], s[34:35], -v[244:245]
	v_add_f64 v[94:95], v[94:95], v[96:97]
	v_mul_f64 v[104:105], v[156:157], s[36:37]
	v_fma_f64 v[244:245], v[134:135], s[2:3], -v[242:243]
	v_add_f64 v[248:249], v[10:11], v[248:249]
	v_fma_f64 v[88:89], v[152:153], s[8:9], -v[106:107]
	v_add_f64 v[92:93], v[92:93], v[94:95]
	v_mul_f64 v[100:101], v[162:163], s[50:51]
	v_fma_f64 v[106:107], v[140:141], s[28:29], -v[104:105]
	v_add_f64 v[244:245], v[244:245], v[248:249]
	v_accvgpr_write_b32 a0, v76
	v_fmac_f64_e32 v[80:81], s[28:29], v[182:183]
	v_add_f64 v[90:91], v[90:91], v[92:93]
	v_mul_f64 v[96:97], v[172:173], s[30:31]
	v_fma_f64 v[102:103], v[150:151], s[8:9], -v[100:101]
	v_add_f64 v[106:107], v[106:107], v[244:245]
	v_accvgpr_write_b32 a1, v77
	v_accvgpr_write_b32 a2, v78
	;; [unrolled: 1-line block ×3, first 2 shown]
	v_add_f64 v[78:79], v[80:81], v[82:83]
	v_fma_f64 v[80:81], v[174:175], s[28:29], -v[86:87]
	v_fma_f64 v[86:87], v[158:159], s[2:3], -v[98:99]
	v_add_f64 v[88:89], v[88:89], v[90:91]
	v_mul_f64 v[92:93], v[178:179], s[20:21]
	v_fma_f64 v[98:99], v[160:161], s[26:27], -v[96:97]
	v_add_f64 v[102:103], v[102:103], v[106:107]
	v_add_f64 v[86:87], v[86:87], v[88:89]
	v_mul_f64 v[90:91], v[188:189], s[46:47]
	v_fma_f64 v[94:95], v[166:167], s[14:15], -v[92:93]
	v_add_f64 v[98:99], v[98:99], v[102:103]
	;; [unrolled: 4-line block ×3, first 2 shown]
	v_mul_f64 v[250:251], v[128:129], s[40:41]
	v_add_f64 v[76:77], v[80:81], v[84:85]
	v_fma_f64 v[84:85], v[182:183], s[18:19], -v[88:89]
	v_add_f64 v[86:87], v[86:87], v[94:95]
	v_mul_f64 v[248:249], v[138:139], s[48:49]
	v_fma_f64 v[252:253], s[34:35], v[126:127], v[250:251]
	v_fmac_f64_e32 v[246:247], s[34:35], v[132:133]
	v_add_f64 v[86:87], v[84:85], v[86:87]
	v_mul_f64 v[244:245], v[148:149], s[36:37]
	v_fma_f64 v[84:85], s[2:3], v[130:131], v[248:249]
	v_add_f64 v[252:253], v[8:9], v[252:253]
	v_fmac_f64_e32 v[242:243], s[2:3], v[134:135]
	v_add_f64 v[246:247], v[10:11], v[246:247]
	v_mul_f64 v[106:107], v[154:155], s[50:51]
	v_add_f64 v[84:85], v[84:85], v[252:253]
	v_fma_f64 v[252:253], s[28:29], v[136:137], v[244:245]
	v_fmac_f64_e32 v[104:105], s[28:29], v[140:141]
	v_add_f64 v[242:243], v[242:243], v[246:247]
	v_mul_f64 v[102:103], v[164:165], s[30:31]
	v_add_f64 v[84:85], v[252:253], v[84:85]
	v_fma_f64 v[252:253], s[8:9], v[142:143], v[106:107]
	;; [unrolled: 5-line block ×4, first 2 shown]
	v_fmac_f64_e32 v[92:93], s[14:15], v[166:167]
	v_add_f64 v[96:97], v[96:97], v[100:101]
	v_add_f64 v[84:85], v[252:253], v[84:85]
	v_fma_f64 v[252:253], s[22:23], v[168:169], v[94:95]
	v_fmac_f64_e32 v[90:91], s[22:23], v[176:177]
	v_add_f64 v[92:93], v[92:93], v[96:97]
	v_fma_f64 v[104:105], v[126:127], s[34:35], -v[250:251]
	v_add_f64 v[84:85], v[252:253], v[84:85]
	v_mul_f64 v[252:253], v[186:187], s[0:1]
	v_fmac_f64_e32 v[88:89], s[18:19], v[182:183]
	v_add_f64 v[90:91], v[90:91], v[92:93]
	v_fma_f64 v[96:97], v[152:153], s[26:27], -v[102:103]
	v_fma_f64 v[102:103], v[130:131], s[2:3], -v[248:249]
	v_add_f64 v[104:105], v[8:9], v[104:105]
	v_mul_f64 v[250:251], v[144:145], s[16:17]
	v_fma_f64 v[254:255], s[18:19], v[174:175], v[252:253]
	v_add_f64 v[90:91], v[88:89], v[90:91]
	v_fma_f64 v[88:89], v[174:175], s[18:19], -v[252:253]
	v_fma_f64 v[100:101], v[136:137], s[28:29], -v[244:245]
	v_add_f64 v[102:103], v[102:103], v[104:105]
	v_mul_f64 v[246:247], v[146:147], s[38:39]
	v_fma_f64 v[252:253], v[132:133], s[8:9], -v[250:251]
	v_fma_f64 v[92:93], v[168:169], s[22:23], -v[94:95]
	;; [unrolled: 1-line block ×4, first 2 shown]
	v_add_f64 v[100:101], v[100:101], v[102:103]
	v_mul_f64 v[242:243], v[156:157], s[30:31]
	v_fma_f64 v[248:249], v[134:135], s[18:19], -v[246:247]
	v_add_f64 v[252:253], v[10:11], v[252:253]
	v_add_f64 v[98:99], v[98:99], v[100:101]
	v_mul_f64 v[104:105], v[162:163], s[40:41]
	v_fma_f64 v[244:245], v[140:141], s[26:27], -v[242:243]
	v_add_f64 v[248:249], v[248:249], v[252:253]
	v_add_f64 v[96:97], v[96:97], v[98:99]
	s_mov_b32 s53, 0xbfe58eea
	s_mov_b32 s52, s46
	v_mul_f64 v[100:101], v[172:173], s[54:55]
	v_fma_f64 v[106:107], v[150:151], s[34:35], -v[104:105]
	v_add_f64 v[244:245], v[244:245], v[248:249]
	v_add_f64 v[94:95], v[94:95], v[96:97]
	v_mul_f64 v[98:99], v[178:179], s[52:53]
	v_fma_f64 v[102:103], v[160:161], s[28:29], -v[100:101]
	v_add_f64 v[106:107], v[106:107], v[244:245]
	v_add_f64 v[92:93], v[92:93], v[94:95]
	v_mul_f64 v[96:97], v[188:189], s[20:21]
	v_fma_f64 v[94:95], v[166:167], s[22:23], -v[98:99]
	v_add_f64 v[102:103], v[102:103], v[106:107]
	v_mul_f64 v[252:253], v[128:129], s[16:17]
	v_add_f64 v[84:85], v[254:255], v[84:85]
	v_add_f64 v[88:89], v[88:89], v[92:93]
	v_fma_f64 v[92:93], v[176:177], s[14:15], -v[96:97]
	v_add_f64 v[94:95], v[94:95], v[102:103]
	v_mul_f64 v[248:249], v[138:139], s[38:39]
	v_fma_f64 v[254:255], s[8:9], v[126:127], v[252:253]
	v_add_f64 v[92:93], v[92:93], v[94:95]
	v_mul_f64 v[244:245], v[148:149], s[30:31]
	v_fma_f64 v[94:95], s[18:19], v[130:131], v[248:249]
	v_add_f64 v[254:255], v[8:9], v[254:255]
	v_mul_f64 v[106:107], v[154:155], s[40:41]
	v_add_f64 v[94:95], v[94:95], v[254:255]
	v_fma_f64 v[254:255], s[26:27], v[136:137], v[244:245]
	v_mul_f64 v[102:103], v[164:165], s[54:55]
	v_add_f64 v[94:95], v[254:255], v[94:95]
	v_fma_f64 v[254:255], s[34:35], v[142:143], v[106:107]
	v_add_f64 v[94:95], v[254:255], v[94:95]
	v_fma_f64 v[254:255], s[28:29], v[152:153], v[102:103]
	v_accvgpr_write_b32 a4, v76
	v_add_f64 v[94:95], v[254:255], v[94:95]
	v_mul_f64 v[254:255], v[170:171], s[52:53]
	v_accvgpr_write_b32 a5, v77
	v_accvgpr_write_b32 a6, v78
	;; [unrolled: 1-line block ×3, first 2 shown]
	v_fma_f64 v[76:77], s[22:23], v[158:159], v[254:255]
	v_mul_f64 v[78:79], v[180:181], s[20:21]
	v_add_f64 v[76:77], v[76:77], v[94:95]
	v_fma_f64 v[94:95], s[14:15], v[168:169], v[78:79]
	v_mul_f64 v[112:113], v[194:195], s[48:49]
	v_add_f64 v[76:77], v[94:95], v[76:77]
	v_fma_f64 v[94:95], v[182:183], s[2:3], -v[112:113]
	v_mul_f64 v[114:115], v[186:187], s[48:49]
	v_add_f64 v[94:95], v[94:95], v[92:93]
	v_fma_f64 v[92:93], s[2:3], v[174:175], v[114:115]
	v_fmac_f64_e32 v[250:251], s[8:9], v[132:133]
	v_add_f64 v[92:93], v[92:93], v[76:77]
	v_fmac_f64_e32 v[246:247], s[18:19], v[134:135]
	v_add_f64 v[76:77], v[10:11], v[250:251]
	v_add_f64 v[76:77], v[246:247], v[76:77]
	v_fmac_f64_e32 v[242:243], s[26:27], v[140:141]
	v_add_f64 v[76:77], v[242:243], v[76:77]
	v_fmac_f64_e32 v[104:105], s[34:35], v[150:151]
	;; [unrolled: 2-line block ×3, first 2 shown]
	v_fmac_f64_e32 v[98:99], s[22:23], v[166:167]
	v_add_f64 v[76:77], v[100:101], v[76:77]
	v_fmac_f64_e32 v[96:97], s[14:15], v[176:177]
	v_add_f64 v[76:77], v[98:99], v[76:77]
	;; [unrolled: 2-line block ×3, first 2 shown]
	v_add_f64 v[98:99], v[112:113], v[76:77]
	v_fma_f64 v[112:113], v[126:127], s[8:9], -v[252:253]
	v_fma_f64 v[100:101], v[152:153], s[28:29], -v[102:103]
	;; [unrolled: 1-line block ×4, first 2 shown]
	v_add_f64 v[112:113], v[8:9], v[112:113]
	v_fma_f64 v[104:105], v[136:137], s[26:27], -v[244:245]
	v_add_f64 v[106:107], v[106:107], v[112:113]
	v_add_f64 v[104:105], v[104:105], v[106:107]
	s_mov_b32 s57, 0x3fe0d888
	s_mov_b32 s56, s40
	v_mul_f64 v[244:245], v[144:145], s[0:1]
	v_add_f64 v[102:103], v[102:103], v[104:105]
	v_mul_f64 v[242:243], v[146:147], s[56:57]
	v_fma_f64 v[246:247], v[132:133], s[18:19], -v[244:245]
	v_fma_f64 v[76:77], v[174:175], s[2:3], -v[114:115]
	v_add_f64 v[100:101], v[100:101], v[102:103]
	v_mul_f64 v[114:115], v[156:157], s[46:47]
	v_fma_f64 v[102:103], v[134:135], s[34:35], -v[242:243]
	v_add_f64 v[246:247], v[10:11], v[246:247]
	v_fma_f64 v[96:97], v[158:159], s[22:23], -v[254:255]
	v_mul_f64 v[112:113], v[162:163], s[12:13]
	v_add_f64 v[102:103], v[102:103], v[246:247]
	v_fma_f64 v[246:247], v[140:141], s[22:23], -v[114:115]
	v_fma_f64 v[78:79], v[168:169], s[14:15], -v[78:79]
	v_add_f64 v[96:97], v[96:97], v[100:101]
	v_mul_f64 v[106:107], v[172:173], s[20:21]
	v_add_f64 v[102:103], v[246:247], v[102:103]
	v_fma_f64 v[246:247], v[150:151], s[2:3], -v[112:113]
	v_add_f64 v[78:79], v[78:79], v[96:97]
	v_mul_f64 v[104:105], v[178:179], s[54:55]
	v_add_f64 v[102:103], v[246:247], v[102:103]
	v_fma_f64 v[246:247], v[160:161], s[14:15], -v[106:107]
	v_add_f64 v[96:97], v[76:77], v[78:79]
	v_mul_f64 v[76:77], v[188:189], s[30:31]
	v_fma_f64 v[100:101], v[166:167], s[28:29], -v[104:105]
	v_add_f64 v[102:103], v[246:247], v[102:103]
	v_fma_f64 v[78:79], v[176:177], s[26:27], -v[76:77]
	v_add_f64 v[100:101], v[100:101], v[102:103]
	v_mul_f64 v[248:249], v[128:129], s[0:1]
	v_add_f64 v[78:79], v[78:79], v[100:101]
	v_mul_f64 v[246:247], v[138:139], s[56:57]
	v_fma_f64 v[100:101], s[18:19], v[126:127], v[248:249]
	v_add_f64 v[100:101], v[8:9], v[100:101]
	v_fma_f64 v[102:103], s[34:35], v[130:131], v[246:247]
	v_mul_f64 v[250:251], v[148:149], s[46:47]
	v_add_f64 v[100:101], v[102:103], v[100:101]
	v_fma_f64 v[102:103], s[22:23], v[136:137], v[250:251]
	v_mul_f64 v[252:253], v[154:155], s[12:13]
	v_add_f64 v[100:101], v[102:103], v[100:101]
	v_fma_f64 v[102:103], s[2:3], v[142:143], v[252:253]
	v_mul_f64 v[254:255], v[164:165], s[20:21]
	v_add_f64 v[100:101], v[102:103], v[100:101]
	v_fma_f64 v[102:103], s[14:15], v[152:153], v[254:255]
	v_mul_f64 v[116:117], v[170:171], s[54:55]
	v_add_f64 v[100:101], v[102:103], v[100:101]
	v_fma_f64 v[102:103], s[28:29], v[158:159], v[116:117]
	v_mul_f64 v[118:119], v[180:181], s[30:31]
	v_add_f64 v[100:101], v[102:103], v[100:101]
	v_fma_f64 v[102:103], s[26:27], v[168:169], v[118:119]
	v_mul_f64 v[184:185], v[194:195], s[16:17]
	v_add_f64 v[100:101], v[102:103], v[100:101]
	v_fma_f64 v[102:103], v[182:183], s[8:9], -v[184:185]
	v_add_f64 v[102:103], v[102:103], v[78:79]
	v_mul_f64 v[78:79], v[186:187], s[16:17]
	v_fma_f64 v[80:81], s[8:9], v[174:175], v[78:79]
	v_fmac_f64_e32 v[244:245], s[18:19], v[132:133]
	v_add_f64 v[100:101], v[80:81], v[100:101]
	v_fmac_f64_e32 v[242:243], s[34:35], v[134:135]
	v_add_f64 v[80:81], v[10:11], v[244:245]
	v_add_f64 v[80:81], v[242:243], v[80:81]
	v_fmac_f64_e32 v[114:115], s[22:23], v[140:141]
	v_add_f64 v[80:81], v[114:115], v[80:81]
	v_fmac_f64_e32 v[112:113], s[2:3], v[150:151]
	;; [unrolled: 2-line block ×5, first 2 shown]
	v_fma_f64 v[82:83], v[126:127], s[18:19], -v[248:249]
	v_add_f64 v[76:77], v[76:77], v[80:81]
	v_fma_f64 v[80:81], v[130:131], s[34:35], -v[246:247]
	v_add_f64 v[82:83], v[8:9], v[82:83]
	v_add_f64 v[80:81], v[80:81], v[82:83]
	v_fma_f64 v[82:83], v[136:137], s[22:23], -v[250:251]
	v_fmac_f64_e32 v[184:185], s[8:9], v[182:183]
	v_add_f64 v[80:81], v[82:83], v[80:81]
	v_fma_f64 v[104:105], v[142:143], s[2:3], -v[252:253]
	v_add_f64 v[106:107], v[184:185], v[76:77]
	v_mul_f64 v[184:185], v[160:161], s[2:3]
	v_add_f64 v[80:81], v[104:105], v[80:81]
	v_fma_f64 v[104:105], v[152:153], s[14:15], -v[254:255]
	v_add_f64 v[184:185], v[184:185], v[234:235]
	v_mul_f64 v[234:235], v[150:151], s[26:27]
	v_add_f64 v[80:81], v[104:105], v[80:81]
	v_fma_f64 v[104:105], v[158:159], s[28:29], -v[116:117]
	v_mul_f64 v[116:117], v[132:133], s[28:29]
	v_add_f64 v[232:233], v[234:235], v[232:233]
	v_mul_f64 v[234:235], v[140:141], s[18:19]
	v_add_f64 v[230:231], v[234:235], v[230:231]
	;; [unrolled: 2-line block ×3, first 2 shown]
	v_add_f64 v[226:227], v[234:235], v[226:227]
	v_add_f64 v[116:117], v[10:11], v[116:117]
	;; [unrolled: 1-line block ×4, first 2 shown]
	v_fma_f64 v[104:105], v[168:169], s[26:27], -v[118:119]
	v_add_f64 v[116:117], v[230:231], v[116:117]
	v_add_f64 v[80:81], v[104:105], v[80:81]
	v_fma_f64 v[76:77], v[174:175], s[8:9], -v[78:79]
	v_mul_f64 v[118:119], v[166:167], s[34:35]
	v_add_f64 v[116:117], v[232:233], v[116:117]
	v_add_f64 v[104:105], v[76:77], v[80:81]
	v_mul_f64 v[80:81], v[176:177], s[8:9]
	v_add_f64 v[118:119], v[118:119], v[236:237]
	v_add_f64 v[116:117], v[184:185], v[116:117]
	v_mul_f64 v[114:115], v[128:129], s[36:37]
	v_add_f64 v[80:81], v[80:81], v[238:239]
	v_mul_f64 v[184:185], v[150:151], s[18:19]
	;; [unrolled: 2-line block ×4, first 2 shown]
	v_add_f64 v[108:109], v[108:109], -v[114:115]
	v_add_f64 v[184:185], v[184:185], v[196:197]
	v_accvgpr_read_b32 v197, a17
	v_mul_f64 v[76:77], v[134:135], s[8:9]
	v_mul_f64 v[230:231], v[148:149], s[38:39]
	v_add_f64 v[116:117], v[228:229], -v[116:117]
	v_mul_f64 v[228:229], v[180:181], s[50:51]
	v_add_f64 v[110:111], v[110:111], -v[234:235]
	v_add_f64 v[108:109], v[8:9], v[108:109]
	v_accvgpr_read_b32 v196, a16
	v_mul_f64 v[118:119], v[154:155], s[42:43]
	v_add_f64 v[224:225], v[224:225], -v[228:229]
	v_mul_f64 v[228:229], v[170:171], s[40:41]
	v_add_f64 v[214:215], v[214:215], -v[230:231]
	v_add_f64 v[108:109], v[110:111], v[108:109]
	v_add_f64 v[76:77], v[76:77], v[196:197]
	v_accvgpr_read_b32 v197, a15
	v_mul_f64 v[112:113], v[132:133], s[2:3]
	v_mul_f64 v[78:79], v[182:183], s[22:23]
	v_add_f64 v[220:221], v[220:221], -v[228:229]
	v_mul_f64 v[228:229], v[164:165], s[12:13]
	v_add_f64 v[118:119], v[216:217], -v[118:119]
	v_add_f64 v[108:109], v[214:215], v[108:109]
	v_accvgpr_read_b32 v196, a14
	v_add_f64 v[78:79], v[78:79], v[240:241]
	v_add_f64 v[218:219], v[218:219], -v[228:229]
	v_add_f64 v[108:109], v[118:119], v[108:109]
	v_add_f64 v[112:113], v[112:113], v[196:197]
	v_mul_f64 v[226:227], v[140:141], s[14:15]
	v_add_f64 v[110:111], v[78:79], v[80:81]
	v_add_f64 v[78:79], v[218:219], v[108:109]
	;; [unrolled: 1-line block ×6, first 2 shown]
	v_mul_f64 v[216:217], v[160:161], s[22:23]
	v_mul_f64 v[118:119], v[182:183], s[34:35]
	v_add_f64 v[78:79], v[224:225], v[78:79]
	v_add_f64 v[76:77], v[190:191], v[76:77]
	v_mul_f64 v[234:235], v[166:167], s[26:27]
	v_add_f64 v[108:109], v[116:117], v[78:79]
	v_add_f64 v[78:79], v[118:119], v[212:213]
	;; [unrolled: 1-line block ×4, first 2 shown]
	v_mul_f64 v[236:237], v[176:177], s[28:29]
	v_add_f64 v[116:117], v[234:235], v[204:205]
	v_add_f64 v[76:77], v[118:119], v[76:77]
	v_accvgpr_read_b32 v191, a11
	v_mul_f64 v[82:83], v[128:129], s[12:13]
	v_add_f64 v[80:81], v[236:237], v[208:209]
	v_add_f64 v[76:77], v[116:117], v[76:77]
	v_accvgpr_read_b32 v185, a9
	v_accvgpr_read_b32 v190, a10
	v_mul_f64 v[242:243], v[138:139], s[16:17]
	v_mul_f64 v[114:115], v[180:181], s[36:37]
	v_add_f64 v[76:77], v[80:81], v[76:77]
	v_accvgpr_read_b32 v117, a13
	v_accvgpr_read_b32 v184, a8
	v_add_f64 v[82:83], v[190:191], -v[82:83]
	v_mul_f64 v[222:223], v[148:149], s[44:45]
	v_mul_f64 v[230:231], v[170:171], s[30:31]
	v_add_f64 v[118:119], v[78:79], v[76:77]
	v_add_f64 v[78:79], v[206:207], -v[114:115]
	v_accvgpr_read_b32 v116, a12
	v_add_f64 v[184:185], v[184:185], -v[242:243]
	v_add_f64 v[82:83], v[8:9], v[82:83]
	v_mul_f64 v[206:207], v[144:145], s[52:53]
	v_mul_f64 v[232:233], v[154:155], s[38:39]
	;; [unrolled: 1-line block ×3, first 2 shown]
	v_add_f64 v[80:81], v[202:203], -v[230:231]
	v_add_f64 v[116:117], v[116:117], -v[222:223]
	v_add_f64 v[82:83], v[184:185], v[82:83]
	v_mul_f64 v[202:203], v[146:147], s[36:37]
	v_fma_f64 v[208:209], v[132:133], s[22:23], -v[206:207]
	v_add_f64 v[112:113], v[198:199], -v[228:229]
	v_add_f64 v[114:115], v[192:193], -v[232:233]
	v_add_f64 v[82:83], v[116:117], v[82:83]
	v_mul_f64 v[198:199], v[156:157], s[16:17]
	v_fma_f64 v[204:205], v[134:135], s[28:29], -v[202:203]
	v_add_f64 v[208:209], v[10:11], v[208:209]
	v_mul_f64 v[224:225], v[128:129], s[52:53]
	v_add_f64 v[82:83], v[114:115], v[82:83]
	v_mul_f64 v[192:193], v[162:163], s[20:21]
	v_fma_f64 v[200:201], v[140:141], s[8:9], -v[198:199]
	v_add_f64 v[204:205], v[204:205], v[208:209]
	v_mul_f64 v[220:221], v[138:139], s[36:37]
	v_fma_f64 v[226:227], s[22:23], v[126:127], v[224:225]
	v_add_f64 v[82:83], v[112:113], v[82:83]
	v_mul_f64 v[190:191], v[172:173], s[56:57]
	v_fma_f64 v[196:197], v[150:151], s[14:15], -v[192:193]
	v_add_f64 v[200:201], v[200:201], v[204:205]
	v_mul_f64 v[216:217], v[148:149], s[16:17]
	v_fma_f64 v[222:223], s[28:29], v[130:131], v[220:221]
	v_add_f64 v[226:227], v[8:9], v[226:227]
	v_mul_f64 v[214:215], v[186:187], s[40:41]
	v_add_f64 v[80:81], v[80:81], v[82:83]
	v_mul_f64 v[184:185], v[178:179], s[38:39]
	v_fma_f64 v[114:115], v[160:161], s[34:35], -v[190:191]
	v_add_f64 v[196:197], v[196:197], v[200:201]
	v_mul_f64 v[212:213], v[154:155], s[20:21]
	v_fma_f64 v[218:219], s[8:9], v[136:137], v[216:217]
	v_add_f64 v[222:223], v[222:223], v[226:227]
	v_add_f64 v[76:77], v[210:211], -v[214:215]
	v_add_f64 v[78:79], v[78:79], v[80:81]
	v_mul_f64 v[80:81], v[188:189], s[48:49]
	v_fma_f64 v[112:113], v[166:167], s[18:19], -v[184:185]
	v_add_f64 v[114:115], v[114:115], v[196:197]
	v_mul_f64 v[208:209], v[164:165], s[56:57]
	v_fma_f64 v[214:215], s[14:15], v[142:143], v[212:213]
	v_add_f64 v[218:219], v[218:219], v[222:223]
	v_add_f64 v[116:117], v[76:77], v[78:79]
	v_mul_f64 v[76:77], v[194:195], s[42:43]
	v_fma_f64 v[82:83], v[176:177], s[2:3], -v[80:81]
	v_add_f64 v[112:113], v[112:113], v[114:115]
	v_mul_f64 v[200:201], v[170:171], s[38:39]
	v_fma_f64 v[210:211], s[34:35], v[152:153], v[208:209]
	v_add_f64 v[214:215], v[214:215], v[218:219]
	v_fma_f64 v[78:79], v[182:183], s[26:27], -v[76:77]
	v_add_f64 v[82:83], v[82:83], v[112:113]
	v_mul_f64 v[196:197], v[180:181], s[48:49]
	v_fma_f64 v[204:205], s[18:19], v[158:159], v[200:201]
	v_add_f64 v[210:211], v[210:211], v[214:215]
	v_add_f64 v[114:115], v[78:79], v[82:83]
	v_mul_f64 v[78:79], v[186:187], s[42:43]
	v_fma_f64 v[112:113], s[2:3], v[168:169], v[196:197]
	v_add_f64 v[204:205], v[204:205], v[210:211]
	v_fma_f64 v[82:83], s[26:27], v[174:175], v[78:79]
	v_add_f64 v[112:113], v[112:113], v[204:205]
	v_fmac_f64_e32 v[206:207], s[22:23], v[132:133]
	v_add_f64 v[112:113], v[82:83], v[112:113]
	v_fmac_f64_e32 v[202:203], s[28:29], v[134:135]
	;; [unrolled: 2-line block ×8, first 2 shown]
	v_add_f64 v[80:81], v[80:81], v[82:83]
	v_fma_f64 v[198:199], v[126:127], s[22:23], -v[224:225]
	v_add_f64 v[192:193], v[76:77], v[80:81]
	v_fma_f64 v[76:77], v[174:175], s[26:27], -v[78:79]
	v_fma_f64 v[78:79], v[168:169], s[2:3], -v[196:197]
	;; [unrolled: 1-line block ×3, first 2 shown]
	v_add_f64 v[198:199], v[8:9], v[198:199]
	v_fma_f64 v[190:191], v[136:137], s[8:9], -v[216:217]
	v_add_f64 v[196:197], v[196:197], v[198:199]
	v_fma_f64 v[184:185], v[142:143], s[14:15], -v[212:213]
	;; [unrolled: 2-line block ×3, first 2 shown]
	v_fma_f64 v[82:83], v[152:153], s[34:35], -v[208:209]
	v_add_f64 v[184:185], v[184:185], v[190:191]
	v_mul_f64 v[200:201], v[144:145], s[30:31]
	v_add_f64 v[82:83], v[82:83], v[184:185]
	v_mul_f64 v[198:199], v[146:147], s[52:53]
	v_fma_f64 v[144:145], v[132:133], s[26:27], -v[200:201]
	v_add_f64 v[80:81], v[80:81], v[82:83]
	v_mul_f64 v[156:157], v[156:157], s[12:13]
	v_fma_f64 v[146:147], v[134:135], s[22:23], -v[198:199]
	v_add_f64 v[144:145], v[10:11], v[144:145]
	v_add_f64 v[78:79], v[78:79], v[80:81]
	v_mul_f64 v[162:163], v[162:163], s[36:37]
	v_fma_f64 v[196:197], v[140:141], s[2:3], -v[156:157]
	v_add_f64 v[144:145], v[146:147], v[144:145]
	v_add_f64 v[190:191], v[76:77], v[78:79]
	v_mul_f64 v[76:77], v[194:195], s[20:21]
	v_mul_f64 v[172:173], v[172:173], s[0:1]
	v_fma_f64 v[194:195], v[150:151], s[28:29], -v[162:163]
	v_add_f64 v[144:145], v[196:197], v[144:145]
	v_mul_f64 v[202:203], v[128:129], s[30:31]
	v_mul_f64 v[80:81], v[188:189], s[40:41]
	;; [unrolled: 1-line block ×3, first 2 shown]
	v_fma_f64 v[188:189], v[160:161], s[18:19], -v[172:173]
	v_add_f64 v[144:145], v[194:195], v[144:145]
	v_mul_f64 v[138:139], v[138:139], s[52:53]
	v_fma_f64 v[128:129], s[26:27], v[126:127], v[202:203]
	v_fma_f64 v[184:185], v[166:167], s[8:9], -v[178:179]
	v_add_f64 v[144:145], v[188:189], v[144:145]
	v_mul_f64 v[148:149], v[148:149], s[12:13]
	v_fma_f64 v[196:197], s[22:23], v[130:131], v[138:139]
	v_add_f64 v[128:129], v[8:9], v[128:129]
	v_fma_f64 v[82:83], v[176:177], s[34:35], -v[80:81]
	v_add_f64 v[144:145], v[184:185], v[144:145]
	v_mul_f64 v[154:155], v[154:155], s[36:37]
	v_fma_f64 v[194:195], s[2:3], v[136:137], v[148:149]
	v_add_f64 v[128:129], v[196:197], v[128:129]
	;; [unrolled: 5-line block ×3, first 2 shown]
	v_add_f64 v[146:147], v[78:79], v[82:83]
	v_mul_f64 v[78:79], v[186:187], s[20:21]
	v_mul_f64 v[170:171], v[170:171], s[16:17]
	v_fma_f64 v[186:187], s[18:19], v[152:153], v[164:165]
	v_add_f64 v[128:129], v[188:189], v[128:129]
	v_mul_f64 v[180:181], v[180:181], s[40:41]
	v_fma_f64 v[184:185], s[8:9], v[158:159], v[170:171]
	v_add_f64 v[128:129], v[186:187], v[128:129]
	v_fma_f64 v[144:145], s[34:35], v[168:169], v[180:181]
	v_add_f64 v[128:129], v[184:185], v[128:129]
	;; [unrolled: 2-line block ×3, first 2 shown]
	v_fmac_f64_e32 v[200:201], s[26:27], v[132:133]
	v_fma_f64 v[126:127], v[126:127], s[26:27], -v[202:203]
	v_add_f64 v[144:145], v[82:83], v[128:129]
	v_add_f64 v[82:83], v[10:11], v[200:201]
	;; [unrolled: 1-line block ×15, first 2 shown]
	v_fmac_f64_e32 v[198:199], s[22:23], v[134:135]
	v_add_f64 v[10:11], v[38:39], v[10:11]
	v_add_f64 v[8:9], v[36:37], v[8:9]
	v_fmac_f64_e32 v[156:157], s[2:3], v[140:141]
	v_add_f64 v[82:83], v[198:199], v[82:83]
	v_add_f64 v[10:11], v[42:43], v[10:11]
	v_add_f64 v[8:9], v[40:41], v[8:9]
	v_fmac_f64_e32 v[162:163], s[28:29], v[150:151]
	v_add_f64 v[82:83], v[156:157], v[82:83]
	;; [unrolled: 4-line block ×3, first 2 shown]
	v_fma_f64 v[130:131], v[130:131], s[22:23], -v[138:139]
	v_add_f64 v[10:11], v[50:51], v[10:11]
	v_add_f64 v[8:9], v[48:49], v[8:9]
	v_fmac_f64_e32 v[178:179], s[8:9], v[166:167]
	v_add_f64 v[82:83], v[172:173], v[82:83]
	v_fma_f64 v[134:135], v[136:137], s[2:3], -v[148:149]
	v_add_f64 v[126:127], v[130:131], v[126:127]
	v_add_f64 v[10:11], v[54:55], v[10:11]
	v_add_f64 v[8:9], v[52:53], v[8:9]
	v_fmac_f64_e32 v[80:81], s[34:35], v[176:177]
	v_add_f64 v[82:83], v[178:179], v[82:83]
	v_fma_f64 v[132:133], v[142:143], s[28:29], -v[154:155]
	v_add_f64 v[126:127], v[134:135], v[126:127]
	;; [unrolled: 6-line block ×3, first 2 shown]
	v_add_f64 v[10:11], v[58:59], v[10:11]
	v_add_f64 v[8:9], v[56:57], v[8:9]
	;; [unrolled: 1-line block ×3, first 2 shown]
	v_fma_f64 v[80:81], v[158:159], s[8:9], -v[170:171]
	v_add_f64 v[82:83], v[82:83], v[126:127]
	v_add_f64 v[10:11], v[62:63], v[10:11]
	;; [unrolled: 1-line block ×3, first 2 shown]
	v_fma_f64 v[76:77], v[174:175], s[14:15], -v[78:79]
	v_fma_f64 v[78:79], v[168:169], s[34:35], -v[180:181]
	v_add_f64 v[80:81], v[80:81], v[82:83]
	v_add_f64 v[10:11], v[70:71], v[10:11]
	;; [unrolled: 1-line block ×3, first 2 shown]
	s_movk_i32 s0, 0x110
	v_add_f64 v[78:79], v[78:79], v[80:81]
	v_add_f64 v[10:11], v[74:75], v[10:11]
	;; [unrolled: 1-line block ×3, first 2 shown]
	v_mad_u32_u24 v12, v122, s0, 0
	v_add_f64 v[126:127], v[76:77], v[78:79]
	ds_write_b128 v12, v[8:11]
	ds_write_b128 v12, v[126:129] offset:16
	ds_write_b128 v12, v[190:193] offset:32
	;; [unrolled: 1-line block ×16, first 2 shown]
.LBB0_13:
	s_or_b64 exec, exec, s[24:25]
	s_movk_i32 s0, 0xf1
	v_mul_lo_u16_sdwa v8, v122, s0 dst_sel:DWORD dst_unused:UNUSED_PAD src0_sel:BYTE_0 src1_sel:DWORD
	v_lshrrev_b16_e32 v42, 12, v8
	v_mul_lo_u16_e32 v8, 17, v42
	v_sub_u16_e32 v43, v122, v8
	v_mov_b32_e32 v8, 12
	v_mul_u32_u24_sdwa v8, v43, v8 dst_sel:DWORD dst_unused:UNUSED_PAD src0_sel:BYTE_0 src1_sel:DWORD
	v_lshlrev_b32_e32 v8, 4, v8
	s_load_dwordx2 s[2:3], s[6:7], 0x0
	s_waitcnt lgkmcnt(0)
	; wave barrier
	s_waitcnt lgkmcnt(0)
	global_load_dwordx4 v[12:15], v8, s[4:5]
	global_load_dwordx4 v[16:19], v8, s[4:5] offset:16
	global_load_dwordx4 v[24:27], v8, s[4:5] offset:32
	;; [unrolled: 1-line block ×11, first 2 shown]
	v_lshl_add_u32 v60, v122, 4, 0
	ds_read_b128 v[82:85], v60
	ds_read_b128 v[32:35], v60 offset:816
	ds_read_b128 v[86:89], v60 offset:1632
	;; [unrolled: 1-line block ×12, first 2 shown]
	s_mov_b32 s22, 0x42a4c3d2
	s_mov_b32 s30, 0x66966769
	s_mov_b32 s16, 0x2ef20147
	s_mov_b32 s20, 0x24c2f84
	s_mov_b32 s28, 0x4bc48dbf
	s_mov_b32 s13, 0xbfddbe06
	s_mov_b32 s12, 0x4267c47c
	s_mov_b32 s23, 0xbfea55e2
	s_mov_b32 s31, 0xbfefc445
	s_mov_b32 s17, 0xbfedeba7
	s_mov_b32 s21, 0xbfe5384d
	s_mov_b32 s29, 0xbfcea1e5
	s_mov_b32 s26, 0x93053d00
	s_mov_b32 s8, 0xe00740e9
	s_mov_b32 s6, 0x1ea71119
	s_mov_b32 s0, 0xebaa3ed8
	s_mov_b32 s14, 0xb2365da1
	s_mov_b32 s18, 0xd0032e0c
	s_mov_b32 s27, 0xbfef11f4
	s_mov_b32 s9, 0x3fec55a7
	s_mov_b32 s7, 0x3fe22d96
	s_mov_b32 s1, 0x3fbedb7d
	s_mov_b32 s15, 0xbfd6b1d8
	s_mov_b32 s19, 0xbfe7f3cc
	s_mov_b32 s35, 0x3fe5384d
	s_mov_b32 s34, s20
	s_mov_b32 s25, 0x3fefc445
	s_mov_b32 s24, s30
	s_mov_b32 s37, 0x3fedeba7
	s_mov_b32 s36, s16
	s_waitcnt lgkmcnt(0)
	; wave barrier
	s_waitcnt vmcnt(11) lgkmcnt(0)
	v_mul_f64 v[40:41], v[34:35], v[14:15]
	v_mul_f64 v[118:119], v[32:33], v[14:15]
	s_waitcnt vmcnt(10)
	v_mul_f64 v[14:15], v[88:89], v[18:19]
	v_fma_f64 v[142:143], v[32:33], v[12:13], -v[40:41]
	v_mul_f64 v[138:139], v[86:87], v[18:19]
	s_waitcnt vmcnt(9)
	v_mul_f64 v[18:19], v[92:93], v[26:27]
	v_fmac_f64_e32 v[118:119], v[34:35], v[12:13]
	v_fma_f64 v[86:87], v[86:87], v[16:17], -v[14:15]
	v_add_f64 v[12:13], v[82:83], v[142:143]
	v_mul_f64 v[36:37], v[90:91], v[26:27]
	s_waitcnt vmcnt(8)
	v_mul_f64 v[26:27], v[96:97], v[46:47]
	v_fmac_f64_e32 v[138:139], v[88:89], v[16:17]
	v_fma_f64 v[40:41], v[90:91], v[24:25], -v[18:19]
	v_add_f64 v[14:15], v[84:85], v[118:119]
	v_add_f64 v[12:13], v[12:13], v[86:87]
	v_mul_f64 v[28:29], v[94:95], v[46:47]
	s_waitcnt vmcnt(7)
	v_mul_f64 v[46:47], v[100:101], v[50:51]
	v_fmac_f64_e32 v[36:37], v[92:93], v[24:25]
	v_fma_f64 v[32:33], v[94:95], v[44:45], -v[26:27]
	v_add_f64 v[14:15], v[14:15], v[138:139]
	;; [unrolled: 7-line block ×6, first 2 shown]
	v_add_f64 v[12:13], v[12:13], v[18:19]
	v_mul_f64 v[30:31], v[114:115], v[68:69]
	s_waitcnt vmcnt(2)
	v_mul_f64 v[68:69], v[128:129], v[72:73]
	s_waitcnt vmcnt(0)
	v_mul_f64 v[140:141], v[136:137], v[80:81]
	v_mul_f64 v[80:81], v[134:135], v[80:81]
	v_fmac_f64_e32 v[22:23], v[112:113], v[62:63]
	v_fma_f64 v[34:35], v[114:115], v[66:67], -v[64:65]
	v_add_f64 v[14:15], v[14:15], v[10:11]
	v_add_f64 v[12:13], v[12:13], v[26:27]
	v_mul_f64 v[38:39], v[126:127], v[72:73]
	v_mul_f64 v[72:73], v[132:133], v[76:77]
	v_fmac_f64_e32 v[30:31], v[116:117], v[66:67]
	v_fma_f64 v[44:45], v[126:127], v[70:71], -v[68:69]
	v_fmac_f64_e32 v[80:81], v[136:137], v[78:79]
	v_add_f64 v[14:15], v[14:15], v[22:23]
	v_add_f64 v[12:13], v[12:13], v[34:35]
	v_mul_f64 v[76:77], v[130:131], v[76:77]
	v_fmac_f64_e32 v[38:39], v[128:129], v[70:71]
	v_fma_f64 v[46:47], v[130:131], v[74:75], -v[72:73]
	v_fma_f64 v[48:49], v[134:135], v[78:79], -v[140:141]
	v_add_f64 v[14:15], v[14:15], v[30:31]
	v_add_f64 v[12:13], v[12:13], v[44:45]
	v_add_f64 v[54:55], v[118:119], -v[80:81]
	v_fmac_f64_e32 v[76:77], v[132:133], v[74:75]
	v_add_f64 v[14:15], v[14:15], v[38:39]
	v_add_f64 v[12:13], v[12:13], v[46:47]
	;; [unrolled: 1-line block ×3, first 2 shown]
	v_mul_f64 v[56:57], v[54:55], s[12:13]
	v_mul_f64 v[66:67], v[54:55], s[22:23]
	;; [unrolled: 1-line block ×6, first 2 shown]
	v_add_f64 v[14:15], v[14:15], v[76:77]
	v_add_f64 v[12:13], v[12:13], v[48:49]
	v_add_f64 v[48:49], v[142:143], -v[48:49]
	v_fma_f64 v[106:107], v[50:51], s[26:27], -v[54:55]
	v_fmac_f64_e32 v[54:55], s[26:27], v[50:51]
	v_add_f64 v[14:15], v[14:15], v[80:81]
	v_add_f64 v[52:53], v[118:119], v[80:81]
	v_fma_f64 v[58:59], v[50:51], s[8:9], -v[56:57]
	v_mul_f64 v[62:63], v[48:49], s[12:13]
	v_fmac_f64_e32 v[56:57], s[8:9], v[50:51]
	v_fma_f64 v[68:69], v[50:51], s[6:7], -v[66:67]
	v_mul_f64 v[70:71], v[48:49], s[22:23]
	v_fmac_f64_e32 v[66:67], s[6:7], v[50:51]
	;; [unrolled: 3-line block ×5, first 2 shown]
	v_mul_f64 v[48:49], v[48:49], s[28:29]
	v_add_f64 v[50:51], v[82:83], v[54:55]
	v_add_f64 v[54:55], v[138:139], v[76:77]
	v_add_f64 v[76:77], v[138:139], -v[76:77]
	v_add_f64 v[58:59], v[82:83], v[58:59]
	v_fma_f64 v[64:65], s[8:9], v[52:53], v[62:63]
	v_add_f64 v[56:57], v[82:83], v[56:57]
	v_fma_f64 v[62:63], v[52:53], s[8:9], -v[62:63]
	v_add_f64 v[68:69], v[82:83], v[68:69]
	v_fma_f64 v[72:73], s[6:7], v[52:53], v[70:71]
	v_add_f64 v[66:67], v[82:83], v[66:67]
	v_fma_f64 v[70:71], v[52:53], s[6:7], -v[70:71]
	;; [unrolled: 4-line block ×5, first 2 shown]
	v_add_f64 v[106:107], v[82:83], v[106:107]
	v_fma_f64 v[108:109], s[26:27], v[52:53], v[48:49]
	v_fma_f64 v[48:49], v[52:53], s[26:27], -v[48:49]
	v_add_f64 v[52:53], v[86:87], v[46:47]
	v_mul_f64 v[82:83], v[76:77], s[22:23]
	v_add_f64 v[64:65], v[84:85], v[64:65]
	v_add_f64 v[62:63], v[84:85], v[62:63]
	;; [unrolled: 1-line block ×12, first 2 shown]
	v_add_f64 v[46:47], v[86:87], -v[46:47]
	v_fma_f64 v[84:85], v[52:53], s[6:7], -v[82:83]
	v_add_f64 v[58:59], v[84:85], v[58:59]
	v_mul_f64 v[84:85], v[46:47], s[22:23]
	v_fmac_f64_e32 v[82:83], s[6:7], v[52:53]
	v_add_f64 v[56:57], v[82:83], v[56:57]
	v_fma_f64 v[82:83], v[54:55], s[6:7], -v[84:85]
	v_add_f64 v[62:63], v[82:83], v[62:63]
	v_mul_f64 v[82:83], v[76:77], s[16:17]
	v_fma_f64 v[86:87], s[6:7], v[54:55], v[84:85]
	v_fma_f64 v[84:85], v[52:53], s[14:15], -v[82:83]
	v_add_f64 v[68:69], v[84:85], v[68:69]
	v_mul_f64 v[84:85], v[46:47], s[16:17]
	v_fmac_f64_e32 v[82:83], s[14:15], v[52:53]
	v_add_f64 v[66:67], v[82:83], v[66:67]
	v_fma_f64 v[82:83], v[54:55], s[14:15], -v[84:85]
	v_add_f64 v[70:71], v[82:83], v[70:71]
	v_mul_f64 v[82:83], v[76:77], s[28:29]
	v_add_f64 v[64:65], v[86:87], v[64:65]
	v_fma_f64 v[86:87], s[14:15], v[54:55], v[84:85]
	v_fma_f64 v[84:85], v[52:53], s[26:27], -v[82:83]
	v_add_f64 v[78:79], v[84:85], v[78:79]
	v_mul_f64 v[84:85], v[46:47], s[28:29]
	v_fmac_f64_e32 v[82:83], s[26:27], v[52:53]
	v_add_f64 v[74:75], v[82:83], v[74:75]
	v_fma_f64 v[82:83], v[54:55], s[26:27], -v[84:85]
	v_add_f64 v[72:73], v[86:87], v[72:73]
	v_fma_f64 v[86:87], s[26:27], v[54:55], v[84:85]
	v_add_f64 v[80:81], v[82:83], v[80:81]
	v_mul_f64 v[82:83], v[76:77], s[34:35]
	v_add_f64 v[86:87], v[86:87], v[88:89]
	v_fma_f64 v[84:85], v[52:53], s[18:19], -v[82:83]
	v_mul_f64 v[88:89], v[46:47], s[34:35]
	v_fmac_f64_e32 v[82:83], s[18:19], v[52:53]
	v_add_f64 v[84:85], v[84:85], v[92:93]
	v_fma_f64 v[92:93], s[18:19], v[54:55], v[88:89]
	v_add_f64 v[82:83], v[82:83], v[90:91]
	v_fma_f64 v[88:89], v[54:55], s[18:19], -v[88:89]
	v_mul_f64 v[90:91], v[76:77], s[24:25]
	v_add_f64 v[92:93], v[92:93], v[96:97]
	v_add_f64 v[88:89], v[88:89], v[94:95]
	v_fma_f64 v[94:95], v[52:53], s[0:1], -v[90:91]
	v_mul_f64 v[96:97], v[46:47], s[24:25]
	s_mov_b32 s13, 0x3fddbe06
	v_add_f64 v[94:95], v[94:95], v[100:101]
	v_fma_f64 v[100:101], s[0:1], v[54:55], v[96:97]
	v_fmac_f64_e32 v[90:91], s[0:1], v[52:53]
	v_fma_f64 v[96:97], v[54:55], s[0:1], -v[96:97]
	v_mul_f64 v[76:77], v[76:77], s[12:13]
	v_mul_f64 v[46:47], v[46:47], s[12:13]
	v_add_f64 v[90:91], v[90:91], v[98:99]
	v_add_f64 v[96:97], v[96:97], v[102:103]
	v_fma_f64 v[98:99], v[52:53], s[8:9], -v[76:77]
	v_fma_f64 v[102:103], s[8:9], v[54:55], v[46:47]
	v_fmac_f64_e32 v[76:77], s[8:9], v[52:53]
	v_fma_f64 v[46:47], v[54:55], s[8:9], -v[46:47]
	v_add_f64 v[52:53], v[36:37], v[38:39]
	v_add_f64 v[36:37], v[36:37], -v[38:39]
	v_add_f64 v[46:47], v[46:47], v[48:49]
	v_add_f64 v[48:49], v[40:41], v[44:45]
	v_add_f64 v[40:41], v[40:41], -v[44:45]
	v_mul_f64 v[38:39], v[36:37], s[30:31]
	v_fma_f64 v[44:45], v[48:49], s[0:1], -v[38:39]
	v_mul_f64 v[54:55], v[40:41], s[30:31]
	v_fmac_f64_e32 v[38:39], s[0:1], v[48:49]
	v_add_f64 v[44:45], v[44:45], v[58:59]
	v_fma_f64 v[58:59], s[0:1], v[52:53], v[54:55]
	v_add_f64 v[38:39], v[38:39], v[56:57]
	v_fma_f64 v[54:55], v[52:53], s[0:1], -v[54:55]
	v_mul_f64 v[56:57], v[36:37], s[28:29]
	v_add_f64 v[58:59], v[58:59], v[64:65]
	v_add_f64 v[54:55], v[54:55], v[62:63]
	v_fma_f64 v[62:63], v[48:49], s[26:27], -v[56:57]
	v_mul_f64 v[64:65], v[40:41], s[28:29]
	v_fmac_f64_e32 v[56:57], s[26:27], v[48:49]
	v_add_f64 v[62:63], v[62:63], v[68:69]
	v_fma_f64 v[68:69], s[26:27], v[52:53], v[64:65]
	v_add_f64 v[56:57], v[56:57], v[66:67]
	v_fma_f64 v[64:65], v[52:53], s[26:27], -v[64:65]
	v_mul_f64 v[66:67], v[36:37], s[36:37]
	v_add_f64 v[68:69], v[68:69], v[72:73]
	v_add_f64 v[64:65], v[64:65], v[70:71]
	;; [unrolled: 10-line block ×4, first 2 shown]
	v_fma_f64 v[86:87], v[48:49], s[6:7], -v[82:83]
	v_mul_f64 v[88:89], v[40:41], s[22:23]
	v_fmac_f64_e32 v[82:83], s[6:7], v[48:49]
	v_mul_f64 v[36:37], v[36:37], s[20:21]
	v_mul_f64 v[40:41], v[40:41], s[20:21]
	v_add_f64 v[86:87], v[86:87], v[94:95]
	v_add_f64 v[82:83], v[82:83], v[90:91]
	v_fma_f64 v[90:91], v[48:49], s[18:19], -v[36:37]
	v_fma_f64 v[94:95], s[18:19], v[52:53], v[40:41]
	v_fmac_f64_e32 v[36:37], s[18:19], v[48:49]
	v_fma_f64 v[40:41], v[52:53], s[18:19], -v[40:41]
	v_add_f64 v[48:49], v[28:29], v[30:31]
	v_add_f64 v[28:29], v[28:29], -v[30:31]
	v_add_f64 v[40:41], v[40:41], v[46:47]
	v_add_f64 v[46:47], v[32:33], v[34:35]
	v_mul_f64 v[30:31], v[28:29], s[16:17]
	v_add_f64 v[32:33], v[32:33], -v[34:35]
	v_fma_f64 v[34:35], v[46:47], s[14:15], -v[30:31]
	v_add_f64 v[34:35], v[34:35], v[44:45]
	v_mul_f64 v[44:45], v[32:33], s[16:17]
	v_fmac_f64_e32 v[30:31], s[14:15], v[46:47]
	v_add_f64 v[36:37], v[36:37], v[50:51]
	v_fma_f64 v[50:51], s[14:15], v[48:49], v[44:45]
	v_add_f64 v[30:31], v[30:31], v[38:39]
	v_fma_f64 v[38:39], v[48:49], s[14:15], -v[44:45]
	v_mul_f64 v[44:45], v[28:29], s[34:35]
	v_add_f64 v[84:85], v[84:85], v[92:93]
	v_fma_f64 v[92:93], s[6:7], v[52:53], v[88:89]
	v_fma_f64 v[88:89], v[52:53], s[6:7], -v[88:89]
	v_add_f64 v[38:39], v[38:39], v[54:55]
	v_fma_f64 v[52:53], v[46:47], s[18:19], -v[44:45]
	v_mul_f64 v[54:55], v[32:33], s[34:35]
	v_fmac_f64_e32 v[44:45], s[18:19], v[46:47]
	v_add_f64 v[50:51], v[50:51], v[58:59]
	v_fma_f64 v[58:59], s[18:19], v[48:49], v[54:55]
	v_add_f64 v[44:45], v[44:45], v[56:57]
	v_fma_f64 v[54:55], v[48:49], s[18:19], -v[54:55]
	v_mul_f64 v[56:57], v[28:29], s[12:13]
	v_add_f64 v[52:53], v[52:53], v[62:63]
	v_add_f64 v[54:55], v[54:55], v[64:65]
	v_fma_f64 v[62:63], v[46:47], s[8:9], -v[56:57]
	v_mul_f64 v[64:65], v[32:33], s[12:13]
	v_fmac_f64_e32 v[56:57], s[8:9], v[46:47]
	v_add_f64 v[58:59], v[58:59], v[68:69]
	v_fma_f64 v[68:69], s[8:9], v[48:49], v[64:65]
	v_add_f64 v[56:57], v[56:57], v[66:67]
	v_fma_f64 v[64:65], v[48:49], s[8:9], -v[64:65]
	v_mul_f64 v[66:67], v[28:29], s[30:31]
	v_add_f64 v[62:63], v[62:63], v[70:71]
	v_add_f64 v[64:65], v[64:65], v[72:73]
	v_fma_f64 v[70:71], v[46:47], s[0:1], -v[66:67]
	v_mul_f64 v[72:73], v[32:33], s[30:31]
	v_fmac_f64_e32 v[66:67], s[0:1], v[46:47]
	s_mov_b32 s35, 0x3fcea1e5
	s_mov_b32 s34, s28
	v_add_f64 v[68:69], v[68:69], v[76:77]
	v_fma_f64 v[76:77], s[0:1], v[48:49], v[72:73]
	v_add_f64 v[66:67], v[66:67], v[74:75]
	v_fma_f64 v[72:73], v[48:49], s[0:1], -v[72:73]
	v_mul_f64 v[74:75], v[28:29], s[34:35]
	s_mov_b32 s31, 0x3fea55e2
	s_mov_b32 s30, s22
	v_add_f64 v[70:71], v[70:71], v[78:79]
	v_add_f64 v[72:73], v[72:73], v[80:81]
	v_fma_f64 v[78:79], v[46:47], s[26:27], -v[74:75]
	v_mul_f64 v[80:81], v[32:33], s[34:35]
	v_mul_f64 v[32:33], v[32:33], s[30:31]
	v_add_f64 v[78:79], v[78:79], v[86:87]
	v_fmac_f64_e32 v[74:75], s[26:27], v[46:47]
	v_mul_f64 v[28:29], v[28:29], s[30:31]
	v_fma_f64 v[86:87], s[6:7], v[48:49], v[32:33]
	v_fma_f64 v[32:33], v[48:49], s[6:7], -v[32:33]
	v_add_f64 v[74:75], v[74:75], v[82:83]
	v_fma_f64 v[82:83], v[46:47], s[6:7], -v[28:29]
	v_fmac_f64_e32 v[28:29], s[6:7], v[46:47]
	v_add_f64 v[32:33], v[32:33], v[40:41]
	v_add_f64 v[40:41], v[20:21], v[22:23]
	v_add_f64 v[20:21], v[20:21], -v[22:23]
	v_add_f64 v[28:29], v[28:29], v[36:37]
	v_add_f64 v[36:37], v[24:25], v[26:27]
	v_mul_f64 v[22:23], v[20:21], s[20:21]
	v_add_f64 v[24:25], v[24:25], -v[26:27]
	v_fma_f64 v[26:27], v[36:37], s[18:19], -v[22:23]
	v_add_f64 v[26:27], v[26:27], v[34:35]
	v_mul_f64 v[34:35], v[24:25], s[20:21]
	v_fmac_f64_e32 v[22:23], s[18:19], v[36:37]
	v_fma_f64 v[46:47], s[18:19], v[40:41], v[34:35]
	v_add_f64 v[22:23], v[22:23], v[30:31]
	v_fma_f64 v[30:31], v[40:41], s[18:19], -v[34:35]
	v_mul_f64 v[34:35], v[20:21], s[24:25]
	v_add_f64 v[76:77], v[76:77], v[84:85]
	v_fma_f64 v[84:85], s[26:27], v[48:49], v[80:81]
	v_fma_f64 v[80:81], v[48:49], s[26:27], -v[80:81]
	v_add_f64 v[30:31], v[30:31], v[38:39]
	v_fma_f64 v[38:39], v[36:37], s[0:1], -v[34:35]
	v_mul_f64 v[48:49], v[24:25], s[24:25]
	v_fmac_f64_e32 v[34:35], s[0:1], v[36:37]
	v_add_f64 v[46:47], v[46:47], v[50:51]
	v_fma_f64 v[50:51], s[0:1], v[40:41], v[48:49]
	v_add_f64 v[34:35], v[34:35], v[44:45]
	v_fma_f64 v[44:45], v[40:41], s[0:1], -v[48:49]
	v_mul_f64 v[48:49], v[20:21], s[22:23]
	v_add_f64 v[38:39], v[38:39], v[52:53]
	v_add_f64 v[44:45], v[44:45], v[54:55]
	v_fma_f64 v[52:53], v[36:37], s[6:7], -v[48:49]
	v_mul_f64 v[54:55], v[24:25], s[22:23]
	v_fmac_f64_e32 v[48:49], s[6:7], v[36:37]
	v_add_f64 v[50:51], v[50:51], v[58:59]
	v_fma_f64 v[58:59], s[6:7], v[40:41], v[54:55]
	v_add_f64 v[48:49], v[48:49], v[56:57]
	v_fma_f64 v[54:55], v[40:41], s[6:7], -v[54:55]
	v_mul_f64 v[56:57], v[20:21], s[34:35]
	v_add_f64 v[52:53], v[52:53], v[62:63]
	v_add_f64 v[54:55], v[54:55], v[64:65]
	v_fma_f64 v[62:63], v[36:37], s[26:27], -v[56:57]
	v_mul_f64 v[64:65], v[24:25], s[34:35]
	v_fmac_f64_e32 v[56:57], s[26:27], v[36:37]
	v_add_f64 v[100:101], v[100:101], v[104:105]
	v_add_f64 v[98:99], v[98:99], v[106:107]
	;; [unrolled: 1-line block ×3, first 2 shown]
	v_fma_f64 v[68:69], s[26:27], v[40:41], v[64:65]
	v_add_f64 v[56:57], v[56:57], v[66:67]
	v_fma_f64 v[64:65], v[40:41], s[26:27], -v[64:65]
	v_mul_f64 v[66:67], v[20:21], s[12:13]
	v_add_f64 v[102:103], v[102:103], v[108:109]
	v_add_f64 v[92:93], v[92:93], v[100:101]
	;; [unrolled: 1-line block ×6, first 2 shown]
	v_fma_f64 v[70:71], v[36:37], s[8:9], -v[66:67]
	v_mul_f64 v[72:73], v[24:25], s[12:13]
	v_fmac_f64_e32 v[66:67], s[8:9], v[36:37]
	v_mul_f64 v[20:21], v[20:21], s[16:17]
	v_add_f64 v[94:95], v[94:95], v[102:103]
	v_add_f64 v[84:85], v[84:85], v[92:93]
	;; [unrolled: 1-line block ×5, first 2 shown]
	v_fma_f64 v[76:77], s[8:9], v[40:41], v[72:73]
	v_add_f64 v[66:67], v[66:67], v[74:75]
	v_fma_f64 v[74:75], v[36:37], s[14:15], -v[20:21]
	v_mul_f64 v[24:25], v[24:25], s[16:17]
	v_add_f64 v[88:89], v[8:9], -v[10:11]
	v_add_f64 v[86:87], v[86:87], v[94:95]
	v_add_f64 v[70:71], v[70:71], v[78:79]
	;; [unrolled: 1-line block ×4, first 2 shown]
	v_fma_f64 v[78:79], s[14:15], v[40:41], v[24:25]
	v_add_f64 v[82:83], v[16:17], v[18:19]
	v_add_f64 v[84:85], v[8:9], v[10:11]
	v_mul_f64 v[8:9], v[88:89], s[28:29]
	v_add_f64 v[78:79], v[78:79], v[86:87]
	v_add_f64 v[86:87], v[16:17], -v[18:19]
	v_fma_f64 v[10:11], v[82:83], s[26:27], -v[8:9]
	v_fma_f64 v[72:73], v[40:41], s[8:9], -v[72:73]
	v_fmac_f64_e32 v[20:21], s[14:15], v[36:37]
	v_add_f64 v[16:17], v[10:11], v[26:27]
	v_mul_f64 v[10:11], v[86:87], s[28:29]
	v_add_f64 v[72:73], v[72:73], v[80:81]
	v_add_f64 v[80:81], v[20:21], v[28:29]
	v_fma_f64 v[20:21], v[40:41], s[14:15], -v[24:25]
	v_fma_f64 v[18:19], s[26:27], v[84:85], v[10:11]
	v_mul_f64 v[24:25], v[88:89], s[12:13]
	v_add_f64 v[40:41], v[20:21], v[32:33]
	v_add_f64 v[18:19], v[18:19], v[46:47]
	v_fmac_f64_e32 v[8:9], s[26:27], v[82:83]
	v_fma_f64 v[20:21], v[82:83], s[8:9], -v[24:25]
	v_mul_f64 v[26:27], v[86:87], s[12:13]
	v_fmac_f64_e32 v[24:25], s[8:9], v[82:83]
	v_mul_f64 v[46:47], v[86:87], s[30:31]
	v_add_f64 v[8:9], v[8:9], v[22:23]
	v_fma_f64 v[10:11], v[84:85], s[26:27], -v[10:11]
	v_add_f64 v[20:21], v[20:21], v[38:39]
	v_fma_f64 v[22:23], s[8:9], v[84:85], v[26:27]
	v_add_f64 v[24:25], v[24:25], v[34:35]
	v_fma_f64 v[26:27], v[84:85], s[8:9], -v[26:27]
	v_mul_f64 v[34:35], v[86:87], s[20:21]
	v_fma_f64 v[38:39], s[6:7], v[84:85], v[46:47]
	v_fma_f64 v[46:47], v[84:85], s[6:7], -v[46:47]
	v_add_f64 v[10:11], v[10:11], v[30:31]
	v_add_f64 v[26:27], v[26:27], v[44:45]
	v_mul_f64 v[32:33], v[88:89], s[20:21]
	v_fma_f64 v[30:31], s[18:19], v[84:85], v[34:35]
	v_mul_f64 v[44:45], v[88:89], s[30:31]
	v_add_f64 v[46:47], v[46:47], v[64:65]
	v_mul_f64 v[64:65], v[86:87], s[24:25]
	v_fma_f64 v[28:29], v[82:83], s[18:19], -v[32:33]
	v_add_f64 v[30:31], v[30:31], v[58:59]
	v_fma_f64 v[34:35], v[84:85], s[18:19], -v[34:35]
	v_fma_f64 v[36:37], v[82:83], s[6:7], -v[44:45]
	v_fma_f64 v[58:59], s[0:1], v[84:85], v[64:65]
	v_fma_f64 v[64:65], v[84:85], s[0:1], -v[64:65]
	v_add_f64 v[28:29], v[28:29], v[52:53]
	v_fmac_f64_e32 v[32:33], s[18:19], v[82:83]
	v_add_f64 v[34:35], v[34:35], v[54:55]
	v_add_f64 v[36:37], v[36:37], v[62:63]
	v_fmac_f64_e32 v[44:45], s[6:7], v[82:83]
	v_mul_f64 v[52:53], v[88:89], s[16:17]
	v_mul_f64 v[54:55], v[86:87], s[16:17]
	;; [unrolled: 1-line block ×3, first 2 shown]
	v_add_f64 v[64:65], v[64:65], v[40:41]
	v_mov_b32_e32 v41, 4
	v_add_f64 v[22:23], v[22:23], v[50:51]
	v_add_f64 v[32:33], v[32:33], v[48:49]
	v_add_f64 v[44:45], v[44:45], v[56:57]
	v_fma_f64 v[48:49], v[82:83], s[14:15], -v[52:53]
	v_fma_f64 v[50:51], s[14:15], v[84:85], v[54:55]
	v_fmac_f64_e32 v[52:53], s[14:15], v[82:83]
	v_fma_f64 v[54:55], v[84:85], s[14:15], -v[54:55]
	v_fma_f64 v[56:57], v[82:83], s[0:1], -v[62:63]
	v_mul_u32_u24_e32 v40, 0xdd0, v42
	v_lshlrev_b32_sdwa v41, v41, v43 dst_sel:DWORD dst_unused:UNUSED_PAD src0_sel:DWORD src1_sel:BYTE_0
	v_add_f64 v[38:39], v[38:39], v[68:69]
	v_add_f64 v[48:49], v[48:49], v[70:71]
	;; [unrolled: 1-line block ×7, first 2 shown]
	v_fmac_f64_e32 v[62:63], s[0:1], v[82:83]
	v_add3_u32 v40, 0, v40, v41
	v_add_f64 v[62:63], v[62:63], v[80:81]
	ds_write_b128 v40, v[12:15]
	ds_write_b128 v40, v[16:19] offset:272
	ds_write_b128 v40, v[20:23] offset:544
	;; [unrolled: 1-line block ×12, first 2 shown]
	s_waitcnt lgkmcnt(0)
	; wave barrier
	s_waitcnt lgkmcnt(0)
	ds_read_b128 v[12:15], v60
	ds_read_b128 v[24:27], v60 offset:816
	ds_read_b128 v[20:23], v60 offset:3536
	;; [unrolled: 1-line block ×11, first 2 shown]
	v_cmp_gt_u32_e64 s[0:1], 17, v122
	s_and_saveexec_b64 s[6:7], s[0:1]
	s_cbranch_execz .LBB0_15
; %bb.14:
	ds_read_b128 v[8:11], v60 offset:3264
	ds_read_b128 v[4:7], v60 offset:6800
	;; [unrolled: 1-line block ×3, first 2 shown]
.LBB0_15:
	s_or_b64 exec, exec, s[6:7]
	s_and_saveexec_b64 s[6:7], vcc
	s_cbranch_execz .LBB0_18
; %bb.16:
	v_add_u32_e32 v100, 0x99, v122
	v_lshlrev_b32_e32 v60, 1, v100
	v_mov_b32_e32 v61, 0
	v_add_u32_e32 v101, 0x66, v122
	v_lshl_add_u64 v[70:71], v[60:61], 4, s[4:5]
	v_lshlrev_b32_e32 v60, 1, v101
	v_lshlrev_b32_e32 v86, 1, v122
	global_load_dwordx4 v[62:65], v[70:71], off offset:3264
	global_load_dwordx4 v[66:69], v[70:71], off offset:3280
	v_lshl_add_u64 v[78:79], v[60:61], 4, s[4:5]
	v_add_u32_e32 v60, 0x66, v86
	global_load_dwordx4 v[70:73], v[78:79], off offset:3264
	global_load_dwordx4 v[74:77], v[78:79], off offset:3280
	v_lshl_add_u64 v[88:89], v[60:61], 4, s[4:5]
	global_load_dwordx4 v[78:81], v[88:89], off offset:3264
	global_load_dwordx4 v[82:85], v[88:89], off offset:3280
	v_mov_b32_e32 v87, v61
	v_lshl_add_u64 v[94:95], v[86:87], 4, s[4:5]
	global_load_dwordx4 v[86:89], v[94:95], off offset:3264
	global_load_dwordx4 v[90:93], v[94:95], off offset:3280
	v_mul_lo_u32 v60, s3, v124
	v_mul_lo_u32 v96, s2, v125
	v_mad_u64_u32 v[94:95], s[2:3], s2, v124, 0
	v_add3_u32 v95, v95, v96, v60
	s_mov_b32 s2, 0xe8584caa
	s_mov_b32 s3, 0x3febb67a
	;; [unrolled: 1-line block ×4, first 2 shown]
	v_mov_b32_e32 v123, v61
	s_movk_i32 s8, 0x1000
	s_waitcnt vmcnt(7) lgkmcnt(2)
	v_mul_f64 v[96:97], v[54:55], v[64:65]
	s_waitcnt vmcnt(6) lgkmcnt(0)
	v_mul_f64 v[98:99], v[58:59], v[68:69]
	v_mul_f64 v[64:65], v[52:53], v[64:65]
	;; [unrolled: 1-line block ×3, first 2 shown]
	v_fma_f64 v[52:53], v[52:53], v[62:63], -v[96:97]
	v_fma_f64 v[56:57], v[56:57], v[66:67], -v[98:99]
	v_fmac_f64_e32 v[64:65], v[54:55], v[62:63]
	v_fmac_f64_e32 v[68:69], v[58:59], v[66:67]
	s_waitcnt vmcnt(5)
	v_mul_f64 v[54:55], v[46:47], v[72:73]
	s_waitcnt vmcnt(4)
	v_mul_f64 v[58:59], v[50:51], v[76:77]
	v_mul_f64 v[62:63], v[44:45], v[72:73]
	;; [unrolled: 1-line block ×3, first 2 shown]
	v_add_f64 v[72:73], v[52:53], -v[56:57]
	v_add_f64 v[76:77], v[64:65], v[68:69]
	v_add_f64 v[98:99], v[52:53], v[56:57]
	;; [unrolled: 1-line block ×3, first 2 shown]
	v_fma_f64 v[54:55], v[44:45], v[70:71], -v[54:55]
	v_fma_f64 v[48:49], v[48:49], v[74:75], -v[58:59]
	v_fmac_f64_e32 v[62:63], v[46:47], v[70:71]
	v_fmac_f64_e32 v[66:67], v[50:51], v[74:75]
	s_waitcnt vmcnt(3)
	v_mul_f64 v[50:51], v[34:35], v[80:81]
	s_waitcnt vmcnt(2)
	v_mul_f64 v[58:59], v[38:39], v[84:85]
	v_mul_f64 v[70:71], v[32:33], v[80:81]
	;; [unrolled: 1-line block ×3, first 2 shown]
	v_add_f64 v[96:97], v[42:43], v[64:65]
	v_add_f64 v[64:65], v[64:65], -v[68:69]
	v_fma_f64 v[42:43], -0.5, v[76:77], v[42:43]
	v_fma_f64 v[40:41], -0.5, v[98:99], v[40:41]
	v_add_f64 v[44:45], v[52:53], v[56:57]
	v_add_f64 v[52:53], v[54:55], -v[48:49]
	v_add_f64 v[56:57], v[62:63], v[66:67]
	v_add_f64 v[76:77], v[54:55], v[48:49]
	;; [unrolled: 1-line block ×3, first 2 shown]
	v_fma_f64 v[80:81], v[32:33], v[78:79], -v[50:51]
	v_fma_f64 v[84:85], v[36:37], v[82:83], -v[58:59]
	v_fmac_f64_e32 v[70:71], v[34:35], v[78:79]
	v_fmac_f64_e32 v[74:75], v[38:39], v[82:83]
	v_add_f64 v[46:47], v[96:97], v[68:69]
	v_add_f64 v[68:69], v[30:31], v[62:63]
	v_add_f64 v[62:63], v[62:63], -v[66:67]
	v_fma_f64 v[32:33], s[6:7], v[64:65], v[40:41]
	v_fmac_f64_e32 v[40:41], s[2:3], v[64:65]
	v_fma_f64 v[30:31], -0.5, v[56:57], v[30:31]
	v_fma_f64 v[28:29], -0.5, v[76:77], v[28:29]
	v_add_f64 v[36:37], v[54:55], v[48:49]
	v_add_f64 v[54:55], v[70:71], v[74:75]
	;; [unrolled: 1-line block ×4, first 2 shown]
	v_add_f64 v[56:57], v[80:81], -v[84:85]
	v_add_f64 v[58:59], v[26:27], v[70:71]
	v_fma_f64 v[50:51], s[2:3], v[52:53], v[30:31]
	v_fmac_f64_e32 v[30:31], s[6:7], v[52:53]
	v_fma_f64 v[48:49], s[6:7], v[62:63], v[28:29]
	v_fmac_f64_e32 v[28:29], s[2:3], v[62:63]
	v_fma_f64 v[54:55], -0.5, v[54:55], v[26:27]
	v_fma_f64 v[52:53], -0.5, v[64:65], v[24:25]
	v_add_f64 v[62:63], v[70:71], -v[74:75]
	s_waitcnt vmcnt(1)
	v_mul_f64 v[68:69], v[20:21], v[88:89]
	v_add_f64 v[26:27], v[58:59], v[74:75]
	v_fma_f64 v[58:59], s[2:3], v[56:57], v[54:55]
	v_fmac_f64_e32 v[54:55], s[6:7], v[56:57]
	v_fma_f64 v[56:57], s[6:7], v[62:63], v[52:53]
	v_fmac_f64_e32 v[52:53], s[2:3], v[62:63]
	v_mul_f64 v[62:63], v[22:23], v[88:89]
	v_fmac_f64_e32 v[68:69], v[22:23], v[86:87]
	s_waitcnt vmcnt(0)
	v_mul_f64 v[22:23], v[16:17], v[92:93]
	v_mul_f64 v[64:65], v[18:19], v[92:93]
	v_fmac_f64_e32 v[22:23], v[18:19], v[90:91]
	v_fma_f64 v[62:63], v[20:21], v[86:87], -v[62:63]
	v_fma_f64 v[66:67], v[16:17], v[90:91], -v[64:65]
	v_add_f64 v[16:17], v[68:69], v[22:23]
	v_add_f64 v[64:65], v[62:63], -v[66:67]
	v_fma_f64 v[16:17], -0.5, v[16:17], v[14:15]
	v_add_f64 v[14:15], v[14:15], v[68:69]
	v_fma_f64 v[20:21], s[2:3], v[64:65], v[16:17]
	v_fmac_f64_e32 v[16:17], s[6:7], v[64:65]
	v_add_f64 v[64:65], v[14:15], v[22:23]
	v_add_f64 v[14:15], v[62:63], v[66:67]
	v_fma_f64 v[14:15], -0.5, v[14:15], v[12:13]
	v_add_f64 v[12:13], v[12:13], v[62:63]
	v_add_f64 v[62:63], v[12:13], v[66:67]
	v_lshl_add_u64 v[12:13], v[94:95], 4, s[10:11]
	v_add_f64 v[22:23], v[68:69], -v[22:23]
	v_lshl_add_u64 v[12:13], v[120:121], 4, v[12:13]
	v_fma_f64 v[18:19], s[6:7], v[22:23], v[14:15]
	v_fmac_f64_e32 v[14:15], s[2:3], v[22:23]
	v_lshl_add_u64 v[12:13], v[122:123], 4, v[12:13]
	global_store_dwordx4 v[12:13], v[62:65], off
	global_store_dwordx4 v[12:13], v[14:17], off offset:3536
	v_add_f64 v[24:25], v[24:25], v[80:81]
	s_mov_b32 s10, 0x288b0129
	v_add_co_u32_e32 v14, vcc, s8, v12
	v_add_f64 v[24:25], v[24:25], v[84:85]
	s_nop 0
	v_addc_co_u32_e32 v15, vcc, 0, v13, vcc
	global_store_dwordx4 v[14:15], v[18:21], off offset:2976
	global_store_dwordx4 v[12:13], v[24:27], off offset:816
	;; [unrolled: 1-line block ×4, first 2 shown]
	v_mul_hi_u32 v14, v101, s10
	v_sub_u32_e32 v15, v101, v14
	v_lshrrev_b32_e32 v15, 1, v15
	v_add_u32_e32 v14, v15, v14
	v_lshrrev_b32_e32 v14, 7, v14
	v_mul_u32_u24_e32 v60, 0x1ba, v14
	v_lshl_add_u64 v[14:15], v[60:61], 4, v[12:13]
	s_mov_b64 s[8:9], 0x660
	v_lshl_add_u64 v[16:17], v[14:15], 0, s[8:9]
	s_movk_i32 s8, 0x2000
	global_store_dwordx4 v[14:15], v[36:39], off offset:1632
	global_store_dwordx4 v[16:17], v[28:31], off offset:3536
	v_add_co_u32_e32 v14, vcc, s8, v14
	s_mov_b64 s[8:9], 0x990
	s_nop 0
	v_addc_co_u32_e32 v15, vcc, 0, v15, vcc
	global_store_dwordx4 v[14:15], v[48:51], off offset:512
	v_mul_hi_u32 v14, v100, s10
	v_sub_u32_e32 v15, v100, v14
	v_lshrrev_b32_e32 v15, 1, v15
	v_add_u32_e32 v14, v15, v14
	v_lshrrev_b32_e32 v14, 7, v14
	v_mul_u32_u24_e32 v60, 0x1ba, v14
	v_lshl_add_u64 v[14:15], v[60:61], 4, v[12:13]
	v_fma_f64 v[34:35], s[2:3], v[72:73], v[42:43]
	v_fmac_f64_e32 v[42:43], s[6:7], v[72:73]
	v_lshl_add_u64 v[16:17], v[14:15], 0, s[8:9]
	global_store_dwordx4 v[14:15], v[44:47], off offset:2448
	global_store_dwordx4 v[16:17], v[40:43], off offset:3536
	v_add_co_u32_e32 v14, vcc, 0x2000, v14
	s_nop 1
	v_addc_co_u32_e32 v15, vcc, 0, v15, vcc
	global_store_dwordx4 v[14:15], v[32:35], off offset:1328
	s_and_b64 exec, exec, s[0:1]
	s_cbranch_execz .LBB0_18
; %bb.17:
	v_not_b32_e32 v14, 16
	v_mov_b32_e32 v15, 0xcc
	v_cndmask_b32_e64 v14, v14, v15, s[0:1]
	v_add_lshl_u32 v60, v122, v14, 1
	v_lshl_add_u64 v[22:23], v[60:61], 4, s[4:5]
	global_load_dwordx4 v[14:17], v[22:23], off offset:3264
	global_load_dwordx4 v[18:21], v[22:23], off offset:3280
	v_add_co_u32_e32 v22, vcc, 0x1000, v12
	s_waitcnt vmcnt(1)
	v_mul_f64 v[26:27], v[6:7], v[16:17]
	v_mul_f64 v[16:17], v[4:5], v[16:17]
	s_waitcnt vmcnt(0)
	v_mul_f64 v[28:29], v[2:3], v[20:21]
	v_mul_f64 v[20:21], v[0:1], v[20:21]
	v_fma_f64 v[4:5], v[4:5], v[14:15], -v[26:27]
	v_fmac_f64_e32 v[16:17], v[6:7], v[14:15]
	v_fma_f64 v[0:1], v[0:1], v[18:19], -v[28:29]
	v_fmac_f64_e32 v[20:21], v[2:3], v[18:19]
	v_addc_co_u32_e32 v23, vcc, 0, v13, vcc
	v_add_f64 v[2:3], v[8:9], v[4:5]
	v_add_f64 v[6:7], v[4:5], v[0:1]
	v_add_f64 v[14:15], v[16:17], -v[20:21]
	v_add_f64 v[18:19], v[10:11], v[16:17]
	v_add_f64 v[16:17], v[16:17], v[20:21]
	v_add_co_u32_e32 v24, vcc, 0x2000, v12
	v_add_f64 v[26:27], v[4:5], -v[0:1]
	v_add_f64 v[0:1], v[2:3], v[0:1]
	v_fmac_f64_e32 v[8:9], -0.5, v[6:7]
	v_add_f64 v[2:3], v[18:19], v[20:21]
	v_fmac_f64_e32 v[10:11], -0.5, v[16:17]
	v_addc_co_u32_e32 v25, vcc, 0, v13, vcc
	v_fma_f64 v[4:5], s[2:3], v[14:15], v[8:9]
	v_fmac_f64_e32 v[8:9], s[6:7], v[14:15]
	v_fma_f64 v[6:7], s[6:7], v[26:27], v[10:11]
	v_fmac_f64_e32 v[10:11], s[2:3], v[26:27]
	global_store_dwordx4 v[12:13], v[0:3], off offset:3264
	global_store_dwordx4 v[22:23], v[4:7], off offset:2704
	;; [unrolled: 1-line block ×3, first 2 shown]
.LBB0_18:
	s_endpgm
	.section	.rodata,"a",@progbits
	.p2align	6, 0x0
	.amdhsa_kernel fft_rtc_fwd_len663_factors_17_13_3_wgs_51_tpt_51_dp_op_CI_CI_unitstride_sbrr_dirReg
		.amdhsa_group_segment_fixed_size 0
		.amdhsa_private_segment_fixed_size 0
		.amdhsa_kernarg_size 104
		.amdhsa_user_sgpr_count 2
		.amdhsa_user_sgpr_dispatch_ptr 0
		.amdhsa_user_sgpr_queue_ptr 0
		.amdhsa_user_sgpr_kernarg_segment_ptr 1
		.amdhsa_user_sgpr_dispatch_id 0
		.amdhsa_user_sgpr_kernarg_preload_length 0
		.amdhsa_user_sgpr_kernarg_preload_offset 0
		.amdhsa_user_sgpr_private_segment_size 0
		.amdhsa_uses_dynamic_stack 0
		.amdhsa_enable_private_segment 0
		.amdhsa_system_sgpr_workgroup_id_x 1
		.amdhsa_system_sgpr_workgroup_id_y 0
		.amdhsa_system_sgpr_workgroup_id_z 0
		.amdhsa_system_sgpr_workgroup_info 0
		.amdhsa_system_vgpr_workitem_id 0
		.amdhsa_next_free_vgpr 274
		.amdhsa_next_free_sgpr 58
		.amdhsa_accum_offset 256
		.amdhsa_reserve_vcc 1
		.amdhsa_float_round_mode_32 0
		.amdhsa_float_round_mode_16_64 0
		.amdhsa_float_denorm_mode_32 3
		.amdhsa_float_denorm_mode_16_64 3
		.amdhsa_dx10_clamp 1
		.amdhsa_ieee_mode 1
		.amdhsa_fp16_overflow 0
		.amdhsa_tg_split 0
		.amdhsa_exception_fp_ieee_invalid_op 0
		.amdhsa_exception_fp_denorm_src 0
		.amdhsa_exception_fp_ieee_div_zero 0
		.amdhsa_exception_fp_ieee_overflow 0
		.amdhsa_exception_fp_ieee_underflow 0
		.amdhsa_exception_fp_ieee_inexact 0
		.amdhsa_exception_int_div_zero 0
	.end_amdhsa_kernel
	.text
.Lfunc_end0:
	.size	fft_rtc_fwd_len663_factors_17_13_3_wgs_51_tpt_51_dp_op_CI_CI_unitstride_sbrr_dirReg, .Lfunc_end0-fft_rtc_fwd_len663_factors_17_13_3_wgs_51_tpt_51_dp_op_CI_CI_unitstride_sbrr_dirReg
                                        ; -- End function
	.section	.AMDGPU.csdata,"",@progbits
; Kernel info:
; codeLenInByte = 13676
; NumSgprs: 64
; NumVgprs: 256
; NumAgprs: 18
; TotalNumVgprs: 274
; ScratchSize: 0
; MemoryBound: 1
; FloatMode: 240
; IeeeMode: 1
; LDSByteSize: 0 bytes/workgroup (compile time only)
; SGPRBlocks: 7
; VGPRBlocks: 34
; NumSGPRsForWavesPerEU: 64
; NumVGPRsForWavesPerEU: 274
; AccumOffset: 256
; Occupancy: 1
; WaveLimiterHint : 1
; COMPUTE_PGM_RSRC2:SCRATCH_EN: 0
; COMPUTE_PGM_RSRC2:USER_SGPR: 2
; COMPUTE_PGM_RSRC2:TRAP_HANDLER: 0
; COMPUTE_PGM_RSRC2:TGID_X_EN: 1
; COMPUTE_PGM_RSRC2:TGID_Y_EN: 0
; COMPUTE_PGM_RSRC2:TGID_Z_EN: 0
; COMPUTE_PGM_RSRC2:TIDIG_COMP_CNT: 0
; COMPUTE_PGM_RSRC3_GFX90A:ACCUM_OFFSET: 63
; COMPUTE_PGM_RSRC3_GFX90A:TG_SPLIT: 0
	.text
	.p2alignl 6, 3212836864
	.fill 256, 4, 3212836864
	.type	__hip_cuid_dd2dec40c6dbed91,@object ; @__hip_cuid_dd2dec40c6dbed91
	.section	.bss,"aw",@nobits
	.globl	__hip_cuid_dd2dec40c6dbed91
__hip_cuid_dd2dec40c6dbed91:
	.byte	0                               ; 0x0
	.size	__hip_cuid_dd2dec40c6dbed91, 1

	.ident	"AMD clang version 19.0.0git (https://github.com/RadeonOpenCompute/llvm-project roc-6.4.0 25133 c7fe45cf4b819c5991fe208aaa96edf142730f1d)"
	.section	".note.GNU-stack","",@progbits
	.addrsig
	.addrsig_sym __hip_cuid_dd2dec40c6dbed91
	.amdgpu_metadata
---
amdhsa.kernels:
  - .agpr_count:     18
    .args:
      - .actual_access:  read_only
        .address_space:  global
        .offset:         0
        .size:           8
        .value_kind:     global_buffer
      - .offset:         8
        .size:           8
        .value_kind:     by_value
      - .actual_access:  read_only
        .address_space:  global
        .offset:         16
        .size:           8
        .value_kind:     global_buffer
      - .actual_access:  read_only
        .address_space:  global
        .offset:         24
        .size:           8
        .value_kind:     global_buffer
      - .actual_access:  read_only
        .address_space:  global
        .offset:         32
        .size:           8
        .value_kind:     global_buffer
      - .offset:         40
        .size:           8
        .value_kind:     by_value
      - .actual_access:  read_only
        .address_space:  global
        .offset:         48
        .size:           8
        .value_kind:     global_buffer
      - .actual_access:  read_only
        .address_space:  global
        .offset:         56
        .size:           8
        .value_kind:     global_buffer
      - .offset:         64
        .size:           4
        .value_kind:     by_value
      - .actual_access:  read_only
        .address_space:  global
        .offset:         72
        .size:           8
        .value_kind:     global_buffer
      - .actual_access:  read_only
        .address_space:  global
        .offset:         80
        .size:           8
        .value_kind:     global_buffer
      - .actual_access:  read_only
        .address_space:  global
        .offset:         88
        .size:           8
        .value_kind:     global_buffer
      - .actual_access:  write_only
        .address_space:  global
        .offset:         96
        .size:           8
        .value_kind:     global_buffer
    .group_segment_fixed_size: 0
    .kernarg_segment_align: 8
    .kernarg_segment_size: 104
    .language:       OpenCL C
    .language_version:
      - 2
      - 0
    .max_flat_workgroup_size: 51
    .name:           fft_rtc_fwd_len663_factors_17_13_3_wgs_51_tpt_51_dp_op_CI_CI_unitstride_sbrr_dirReg
    .private_segment_fixed_size: 0
    .sgpr_count:     64
    .sgpr_spill_count: 0
    .symbol:         fft_rtc_fwd_len663_factors_17_13_3_wgs_51_tpt_51_dp_op_CI_CI_unitstride_sbrr_dirReg.kd
    .uniform_work_group_size: 1
    .uses_dynamic_stack: false
    .vgpr_count:     274
    .vgpr_spill_count: 0
    .wavefront_size: 64
amdhsa.target:   amdgcn-amd-amdhsa--gfx950
amdhsa.version:
  - 1
  - 2
...

	.end_amdgpu_metadata
